;; amdgpu-corpus repo=ROCm/aiter kind=harvested arch=n/a opt=n/a

/root/src/amdgpu-assembly/repos/ROCm__aiter/hsa/gfx950/fmoe_2stages/fmoe_stage1_bf16_pertokenInt8_g1u1_48x128_2tg_pf3.co:	file format elf64-amdgpu

Disassembly of section .text:

0000000000002a00 <_ZN5aiter49fmoe_stage1_bf16_pertokenInt8_g1u1_48x128_2tg_pf3E>:
	s_and_b32 s1, s1, 0xffff                                   // 000000002A00: 8601FF01 0000FFFF
	s_load_dwordx2 s[8:9], s[0:1], 0x0                         // 000000002A08: C0060200 00000000
	s_load_dwordx2 s[20:21], s[0:1], 0x10                      // 000000002A10: C0060500 00000010
	s_load_dwordx2 s[24:25], s[0:1], 0x20                      // 000000002A18: C0060600 00000020
	s_load_dwordx2 s[48:49], s[0:1], 0x30                      // 000000002A20: C0060C00 00000030
	s_load_dwordx2 s[28:29], s[0:1], 0x40                      // 000000002A28: C0060700 00000040
	s_load_dwordx2 s[32:33], s[0:1], 0x50                      // 000000002A30: C0060800 00000050
	s_load_dwordx2 s[36:37], s[0:1], 0x60                      // 000000002A38: C0060900 00000060
	s_load_dwordx2 s[12:13], s[0:1], 0x70                      // 000000002A40: C0060300 00000070
	s_load_dwordx2 s[44:45], s[0:1], 0x80                      // 000000002A48: C0060B00 00000080
	s_mov_b32 s89, 0                                           // 000000002A50: BED90080
	s_load_dword s64, s[0:1], 0x90                             // 000000002A54: C0021000 00000090
	s_load_dword s65, s[0:1], 0xa0                             // 000000002A5C: C0021040 000000A0
	s_load_dword s66, s[0:1], 0xb0                             // 000000002A64: C0021080 000000B0
	s_load_dword s67, s[0:1], 0xc0                             // 000000002A6C: C00210C0 000000C0
	s_load_dword s68, s[0:1], 0xd0                             // 000000002A74: C0021100 000000D0
	s_load_dword s69, s[0:1], 0xe0                             // 000000002A7C: C0021140 000000E0
	s_load_dword s71, s[0:1], 0xf0                             // 000000002A84: C00211C0 000000F0
	s_load_dword s72, s[0:1], 0x100                            // 000000002A8C: C0021200 00000100
	s_load_dword s74, s[0:1], 0x110                            // 000000002A94: C0021280 00000110
	s_load_dword s76, s[0:1], 0x120                            // 000000002A9C: C0021300 00000120
	s_load_dword s56, s[0:1], 0x130                            // 000000002AA4: C0020E00 00000130
	s_load_dword s88, s[0:1], 0x140                            // 000000002AAC: C0021600 00000140
	s_load_dword s89, s[0:1], 0x150                            // 000000002AB4: C0021640 00000150
	v_lshrrev_b32_e32 v1, 10, v0                               // 000000002ABC: 2002008A
	v_lshrrev_b32_e32 v2, 10, v1                               // 000000002AC0: 2004028A
	v_and_b32_e32 v2, 0x3ff, v2                                // 000000002AC4: 260404FF 000003FF
	v_and_b32_e32 v1, 0x3ff, v1                                // 000000002ACC: 260202FF 000003FF
	v_and_b32_e32 v0, 0x3ff, v0                                // 000000002AD4: 260000FF 000003FF
	v_lshrrev_b32_e32 v3, 6, v0                                // 000000002ADC: 20060086
	v_and_b32_e32 v0, 63, v0                                   // 000000002AE0: 260000BF
	s_mov_b32 s2, s2                                           // 000000002AE4: BE820002
	s_mov_b32 s3, s3                                           // 000000002AE8: BE830003
	s_mov_b32 s4, s4                                           // 000000002AEC: BE840004
	v_readfirstlane_b32 s7, v3                                 // 000000002AF0: 7E0E0503
	s_waitcnt lgkmcnt(0)                                       // 000000002AF4: BF8CC07F
	s_and_b32 s49, s49, 0xffff                                 // 000000002AF8: 8631FF31 0000FFFF
	s_load_dword s48, s[48:49], 0x0                            // 000000002B00: C0020C18 00000000
	s_and_b32 s45, s45, 0xffff                                 // 000000002B08: 862DFF2D 0000FFFF
	s_and_b32 s9, s9, 0xffff                                   // 000000002B10: 8609FF09 0000FFFF
	s_mul_i32 s60, s66, s68                                    // 000000002B18: 923C4442
	s_mul_i32 s61, s66, 4                                      // 000000002B1C: 923D8442
	s_mov_b32 s22, s60                                         // 000000002B20: BE96003C
	s_mov_b32 s26, -16                                         // 000000002B24: BE9A00D0
	s_mov_b32 s30, s61                                         // 000000002B28: BE9E003D
	s_mov_b32 s14, 0xc0                                        // 000000002B2C: BE8E00FF 000000C0
	s_mov_b32 s38, -16                                         // 000000002B34: BEA600D0
	s_mov_b32 s10, -16                                         // 000000002B38: BE8A00D0
	s_mov_b32 s34, 0x200                                       // 000000002B3C: BEA200FF 00000200
	s_mov_b32 s23, 0x20000                                     // 000000002B44: BE9700FF 00020000
	s_mov_b32 s27, 0x20000                                     // 000000002B4C: BE9B00FF 00020000
	s_mov_b32 s31, 0x20000                                     // 000000002B54: BE9F00FF 00020000
	s_mov_b32 s35, 0x20000                                     // 000000002B5C: BEA300FF 00020000
	s_mov_b32 s15, 0x20000                                     // 000000002B64: BE8F00FF 00020000
	s_mov_b32 s39, 0x20000                                     // 000000002B6C: BEA700FF 00020000
	s_mov_b32 s11, 0x20000                                     // 000000002B74: BE8B00FF 00020000
	s_and_b32 s21, s21, 0xffff                                 // 000000002B7C: 8615FF15 0000FFFF
	s_and_b32 s25, s25, 0xffff                                 // 000000002B84: 8619FF19 0000FFFF
	s_and_b32 s29, s29, 0xffff                                 // 000000002B8C: 861DFF1D 0000FFFF
	s_and_b32 s33, s33, 0xffff                                 // 000000002B94: 8621FF21 0000FFFF
	s_and_b32 s13, s13, 0xffff                                 // 000000002B9C: 860DFF0D 0000FFFF
	s_and_b32 s37, s37, 0xffff                                 // 000000002BA4: 8625FF25 0000FFFF
	s_or_b32 s21, s21, 0x40000                                 // 000000002BAC: 8715FF15 00040000
	s_or_b32 s25, s25, 0x40000                                 // 000000002BB4: 8719FF19 00040000
	s_or_b32 s29, s29, 0x40000                                 // 000000002BBC: 871DFF1D 00040000
	s_or_b32 s33, s33, 0x40000                                 // 000000002BC4: 8721FF21 00040000
	s_or_b32 s13, s13, 0x40000                                 // 000000002BCC: 870DFF0D 00040000
	s_or_b32 s37, s37, 0x40000                                 // 000000002BD4: 8725FF25 00040000
	v_accvgpr_write_b32 a95, 0                                 // 000000002BDC: D3D9405F 18000080
	v_mov_b32_e32 v99, 0                                       // 000000002BE4: 7EC60280
	s_waitcnt lgkmcnt(0)                                       // 000000002BE8: BF8CC07F
	s_mul_i32 s60, s3, 48                                      // 000000002BEC: 923CB003
	s_cmp_lt_i32 s60, s48                                      // 000000002BF0: BF04303C
	s_cbranch_scc0 label_1924                                  // 000000002BF4: BF8418A3
	s_mov_b32 s80, 0                                           // 000000002BF8: BED00080
	s_lshr_b32 s81, s64, s88                                   // 000000002BFC: 8F515840
	s_mul_i32 s60, s3, 4                                       // 000000002C00: 923C8403
	s_add_u32 s44, s60, s44                                    // 000000002C04: 802C2C3C
	s_addc_u32 s45, 0, s45                                     // 000000002C08: 822D2D80
	s_load_dword s5, s[44:45], 0x0                             // 000000002C0C: C0020156 00000000
	s_mul_i32 s60, s3, 48                                      // 000000002C14: 923CB003
	s_mul_i32 s60, 4, s60                                      // 000000002C18: 923C3C84
	s_add_u32 s12, s60, s12                                    // 000000002C1C: 800C0C3C
	s_addc_u32 s13, 0, s13                                     // 000000002C20: 820D0D80
	v_and_b32_e32 v4, 15, v0                                   // 000000002C24: 2608008F
	v_lshlrev_b32_e32 v4, 2, v4                                // 000000002C28: 24080882
	buffer_load_dword v30, v4, s[12:15], 0 offen               // 000000002C2C: E0501000 80031E04
	v_add_u32_e32 v4, 64, v4                                   // 000000002C34: 680808C0
	buffer_load_dword v31, v4, s[12:15], 0 offen               // 000000002C38: E0501000 80031F04
	v_add_u32_e32 v4, 64, v4                                   // 000000002C40: 680808C0
	buffer_load_dword v32, v4, s[12:15], 0 offen               // 000000002C44: E0501000 80032004
	v_add_u32_e32 v4, 64, v4                                   // 000000002C4C: 680808C0
	s_mul_i32 s60, 4, s7                                       // 000000002C50: 923C0784
	v_lshlrev_b32_e32 v4, 4, v0                                // 000000002C54: 24080084
	v_add_u32_e32 v4, s60, v4                                  // 000000002C58: 6808083C
	buffer_load_dword v3, v4, s[12:15], 0 offen                // 000000002C5C: E0501000 80030304
	v_mov_b32_e32 v52, 0                                       // 000000002C64: 7E680280
	v_mov_b32_e32 v76, 0                                       // 000000002C68: 7E980280
	v_mov_b32_e32 v53, 0                                       // 000000002C6C: 7E6A0280
	v_mov_b32_e32 v77, 0                                       // 000000002C70: 7E9A0280
	v_mov_b32_e32 v54, 0                                       // 000000002C74: 7E6C0280
	v_mov_b32_e32 v78, 0                                       // 000000002C78: 7E9C0280
	v_mov_b32_e32 v55, 0                                       // 000000002C7C: 7E6E0280
	v_mov_b32_e32 v79, 0                                       // 000000002C80: 7E9E0280
	v_mov_b32_e32 v56, 0                                       // 000000002C84: 7E700280
	v_mov_b32_e32 v80, 0                                       // 000000002C88: 7EA00280
	v_mov_b32_e32 v57, 0                                       // 000000002C8C: 7E720280
	v_mov_b32_e32 v81, 0                                       // 000000002C90: 7EA20280
	v_mov_b32_e32 v58, 0                                       // 000000002C94: 7E740280
	v_mov_b32_e32 v82, 0                                       // 000000002C98: 7EA40280
	v_mov_b32_e32 v59, 0                                       // 000000002C9C: 7E760280
	v_mov_b32_e32 v83, 0                                       // 000000002CA0: 7EA60280
	v_mov_b32_e32 v60, 0                                       // 000000002CA4: 7E780280
	v_mov_b32_e32 v84, 0                                       // 000000002CA8: 7EA80280
	v_mov_b32_e32 v61, 0                                       // 000000002CAC: 7E7A0280
	v_mov_b32_e32 v85, 0                                       // 000000002CB0: 7EAA0280
	v_mov_b32_e32 v62, 0                                       // 000000002CB4: 7E7C0280
	v_mov_b32_e32 v86, 0                                       // 000000002CB8: 7EAC0280
	v_mov_b32_e32 v63, 0                                       // 000000002CBC: 7E7E0280
	v_mov_b32_e32 v87, 0                                       // 000000002CC0: 7EAE0280
	v_mov_b32_e32 v64, 0                                       // 000000002CC4: 7E800280
	v_mov_b32_e32 v88, 0                                       // 000000002CC8: 7EB00280
	v_mov_b32_e32 v65, 0                                       // 000000002CCC: 7E820280
	v_mov_b32_e32 v89, 0                                       // 000000002CD0: 7EB20280
	v_mov_b32_e32 v66, 0                                       // 000000002CD4: 7E840280
	v_mov_b32_e32 v90, 0                                       // 000000002CD8: 7EB40280
	v_mov_b32_e32 v67, 0                                       // 000000002CDC: 7E860280
	v_mov_b32_e32 v91, 0                                       // 000000002CE0: 7EB60280
	v_mov_b32_e32 v68, 0                                       // 000000002CE4: 7E880280
	v_mov_b32_e32 v92, 0                                       // 000000002CE8: 7EB80280
	v_mov_b32_e32 v69, 0                                       // 000000002CEC: 7E8A0280
	v_mov_b32_e32 v93, 0                                       // 000000002CF0: 7EBA0280
	v_mov_b32_e32 v70, 0                                       // 000000002CF4: 7E8C0280
	v_mov_b32_e32 v94, 0                                       // 000000002CF8: 7EBC0280
	v_mov_b32_e32 v71, 0                                       // 000000002CFC: 7E8E0280
	v_mov_b32_e32 v95, 0                                       // 000000002D00: 7EBE0280
	v_mov_b32_e32 v72, 0                                       // 000000002D04: 7E900280
	v_mov_b32_e32 v96, 0                                       // 000000002D08: 7EC00280
	v_mov_b32_e32 v73, 0                                       // 000000002D0C: 7E920280
	v_mov_b32_e32 v97, 0                                       // 000000002D10: 7EC20280
	v_mov_b32_e32 v74, 0                                       // 000000002D14: 7E940280
	v_mov_b32_e32 v98, 0                                       // 000000002D18: 7EC40280
	v_mov_b32_e32 v75, 0                                       // 000000002D1C: 7E960280
	v_mov_b32_e32 v99, 0                                       // 000000002D20: 7EC60280
	s_mul_i32 s60, s2, 0x100                                   // 000000002D24: 923CFF02 00000100
	s_cmp_eq_u32 s88, 0                                        // 000000002D2C: BF068058
	s_cselect_b32 s61, 1, 2                                    // 000000002D30: 853D8281
	s_mul_i32 s60, s60, s61                                    // 000000002D34: 923C3D3C
	s_mov_b32 s90, s8                                          // 000000002D38: BEDA0008
	s_mov_b32 s91, s9                                          // 000000002D3C: BEDB0009
	s_add_u32 s8, s60, s8                                      // 000000002D40: 8008083C
	s_addc_u32 s9, 0, s9                                       // 000000002D44: 82090980
	v_lshrrev_b32_e32 v4, 4, v0                                // 000000002D48: 20080084
	v_mul_lo_u32 v20, 34, v4                                   // 000000002D4C: D2850014 000208A2
	v_and_b32_e32 v4, 15, v0                                   // 000000002D54: 2608008F
	v_mul_lo_u32 v5, 2, v4                                     // 000000002D58: D2850005 00020882
	v_add_u32_e32 v20, v5, v20                                 // 000000002D60: 68282905
	s_mul_i32 s60, s7, 0x88                                    // 000000002D64: 923CFF07 00000088
	v_add_u32_e32 v20, s60, v20                                // 000000002D6C: 6828283C
	v_lshlrev_b32_e32 v20, 2, v20                              // 000000002D70: 24282882
	v_and_b32_e32 v4, 31, v0                                   // 000000002D74: 2608009F
	v_lshrrev_b32_e32 v4, 1, v4                                // 000000002D78: 20080881
	v_mul_lo_u32 v21, 34, v4                                   // 000000002D7C: D2850015 000208A2
	v_lshrrev_b32_e32 v4, 5, v0                                // 000000002D84: 20080085
	v_mul_lo_u32 v4, 8, v4                                     // 000000002D88: D2850004 00020888
	v_add_u32_e32 v21, v21, v4                                 // 000000002D90: 682A0915
	v_and_b32_e32 v5, 1, v0                                    // 000000002D94: 260A0081
	v_add_u32_e32 v21, v5, v21                                 // 000000002D98: 682A2B05
	s_mul_i32 s60, s7, 2                                       // 000000002D9C: 923C8207
	v_add_u32_e32 v21, s60, v21                                // 000000002DA0: 682A2A3C
	v_lshlrev_b32_e32 v21, 2, v21                              // 000000002DA4: 242A2A82
	s_mul_i32 s60, s7, 0x620                                   // 000000002DA8: 923CFF07 00000620
	s_add_u32 s48, 0, s60                                      // 000000002DB0: 80303C80
	s_add_u32 s49, 0x1880, s48                                 // 000000002DB4: 803130FF 00001880
	s_add_u32 s50, 0x1880, s49                                 // 000000002DBC: 803231FF 00001880
	v_lshrrev_b32_e32 v4, 4, v0                                // 000000002DC4: 20080084
	v_lshlrev_b32_e32 v5, 2, v4                                // 000000002DC8: 240A0882
	v_and_b32_e32 v4, 15, v0                                   // 000000002DCC: 2608008F
	v_lshrrev_b32_e32 v6, 2, v4                                // 000000002DD0: 200C0882
	v_lshlrev_b32_e32 v6, 5, v6                                // 000000002DD4: 240C0C85
	v_add_u32_e32 v5, v6, v5                                   // 000000002DD8: 680A0B06
	v_and_b32_e32 v4, 3, v0                                    // 000000002DDC: 26080083
	v_mul_u32_u24_e32 v6, 0x188, v4                            // 000000002DE0: 100C08FF 00000188
	v_add_u32_e32 v5, v6, v5                                   // 000000002DE8: 680A0B06
	v_lshlrev_b32_e32 v2, 2, v5                                // 000000002DEC: 24040A82
	s_waitcnt lgkmcnt(0)                                       // 000000002DF0: BF8CC07F
	s_mul_i32 s60, s2, 0x80                                    // 000000002DF4: 923CFF02 00000080
	s_mul_i32 s60, s60, s69                                    // 000000002DFC: 923C453C
	s_mul_i32 s61, s5, s72                                     // 000000002E00: 923D4805
	s_add_u32 s60, s61, s60                                    // 000000002E04: 803C3C3D
	s_add_u32 s24, s60, s24                                    // 000000002E08: 8018183C
	s_addc_u32 s25, 0, s25                                     // 000000002E0C: 82191980
	s_lshr_b32 s60, s64, s88                                   // 000000002E10: 8F3C5840
	s_mul_i32 s60, s4, s60                                     // 000000002E14: 923C3C04
	s_lshr_b32 s60, s60, 7                                     // 000000002E18: 8F3C873C
	s_mul_i32 s60, s60, 0x800                                  // 000000002E1C: 923CFF3C 00000800
	s_add_u32 s24, s60, s24                                    // 000000002E24: 8018183C
	s_addc_u32 s25, 0, s25                                     // 000000002E28: 82191980
	s_lshr_b32 s60, s69, s88                                   // 000000002E2C: 8F3C5845
	s_mul_i32 s60, s4, s60                                     // 000000002E30: 923C3C04
	s_add_u32 s20, s60, s20                                    // 000000002E34: 8014143C
	s_addc_u32 s21, 0, s21                                     // 000000002E38: 82151580
	s_mul_i32 s60, s7, 16                                      // 000000002E3C: 923C9007
	s_mul_i32 s60, s60, s69                                    // 000000002E40: 923C453C
	v_lshlrev_b32_e32 v48, 4, v0                               // 000000002E44: 24600084
	v_add_u32_e32 v48, s60, v48                                // 000000002E48: 6860603C
	s_mul_i32 s60, 64, s69                                     // 000000002E4C: 923C45C0
	v_add_u32_e32 v49, s60, v48                                // 000000002E50: 6862603C
	s_mov_b32 s84, s24                                         // 000000002E54: BED40018
	s_mov_b32 s85, s25                                         // 000000002E58: BED50019
	s_mov_b32 s86, s26                                         // 000000002E5C: BED6001A
	s_mov_b32 s87, s27                                         // 000000002E60: BED7001B
	s_mul_i32 s60, s69, s65                                    // 000000002E64: 923C4145
	s_add_u32 s84, s60, s84                                    // 000000002E68: 8054543C
	s_addc_u32 s85, 0, s85                                     // 000000002E6C: 82555580
	v_lshrrev_b32_e32 v4, 4, v0                                // 000000002E70: 20080084
	v_lshlrev_b32_e32 v5, 2, v4                                // 000000002E74: 240A0882
	v_and_b32_e32 v4, 15, v0                                   // 000000002E78: 2608008F
	v_lshrrev_b32_e32 v6, 2, v4                                // 000000002E7C: 200C0882
	v_lshlrev_b32_e32 v6, 6, v6                                // 000000002E80: 240C0C86
	v_add_u32_e32 v5, v6, v5                                   // 000000002E84: 680A0B06
	v_and_b32_e32 v4, 3, v0                                    // 000000002E88: 26080083
	v_add_u32_e32 v5, v4, v5                                   // 000000002E8C: 680A0B04
	v_lshlrev_b32_e32 v22, 2, v5                               // 000000002E90: 242C0A82
	s_mul_i32 s60, s7, 16                                      // 000000002E94: 923C9007
	s_mul_i32 s60, s60, 4                                      // 000000002E98: 923C843C
	v_add_u32_e32 v22, s60, v22                                // 000000002E9C: 682C2C3C
	s_mul_i32 s60, s2, 0x80                                    // 000000002EA0: 923CFF02 00000080
	s_mul_i32 s60, s60, 4                                      // 000000002EA8: 923C843C
	s_mul_i32 s61, s5, s74                                     // 000000002EAC: 923D4A05
	s_add_u32 s61, s61, s60                                    // 000000002EB0: 803D3C3D
	s_add_u32 s32, s61, s32                                    // 000000002EB4: 8020203D
	s_addc_u32 s33, 0, s33                                     // 000000002EB8: 82212180
	s_mov_b32 s57, 0x80                                        // 000000002EBC: BEB900FF 00000080
	s_mov_b32 s58, 0x800                                       // 000000002EC4: BEBA00FF 00000800
	s_mov_b32 s83, s58                                         // 000000002ECC: BED3003A
	s_mov_b32 s52, 0x7060302                                   // 000000002ED0: BEB400FF 07060302
	s_mov_b32 s53, 0x400                                       // 000000002ED8: BEB500FF 00000400
	s_mov_b32 s54, 0x40100                                     // 000000002EE0: BEB600FF 00040100
	s_mov_b32 s55, 0x4020100                                   // 000000002EE8: BEB700FF 04020100
	s_mov_b32 s6, 0x3fb8aa3b                                   // 000000002EF0: BE8600FF 3FB8AA3B
	s_mov_b32 s78, 0xbd92220c                                  // 000000002EF8: BECE00FF BD92220C
	s_mov_b32 s79, 0xbd92220c                                  // 000000002F00: BECF00FF BD92220C
	s_mov_b32 m0, s48                                          // 000000002F08: BEFC0030
	v_mov_b32_e32 v1, 0xbfcc4231                               // 000000002F0C: 7E0202FF BFCC4231
	v_mov_b32_e32 v17, 0xffff0000                              // 000000002F14: 7E2202FF FFFF0000
	v_mov_b32_e32 v18, 0x7fff0000                              // 000000002F1C: 7E2402FF 7FFF0000
	v_mov_b32_e32 v19, 0x7fff                                  // 000000002F24: 7E2602FF 00007FFF
	s_waitcnt vmcnt(0) expcnt(0) lgkmcnt(0)                    // 000000002F2C: BF8C0000
	v_lshrrev_b32_e32 v4, 5, v0                                // 000000002F30: 20080085
	v_xor_b32_e32 v5, 1, v4                                    // 000000002F34: 2A0A0881
	v_readlane_b32 s82, v3, 0                                  // 000000002F38: D2890052 00010103
	s_and_b32 s82, s82, 0xffffff                               // 000000002F40: 8652FF52 00FFFFFF
	v_mul_lo_u32 v6, v5, s82                                   // 000000002F48: D2850006 0000A505
	v_readlane_b32 s82, v3, 1                                  // 000000002F50: D2890052 00010303
	s_and_b32 s82, s82, 0xffffff                               // 000000002F58: 8652FF52 00FFFFFF
	v_mul_lo_u32 v7, v4, s82                                   // 000000002F60: D2850007 0000A504
	v_add_u32_e32 v42, v6, v7                                  // 000000002F68: 68540F06
	v_mul_lo_u32 v42, v42, s68                                 // 000000002F6C: D285002A 0000892A
	v_readlane_b32 s82, v3, 2                                  // 000000002F74: D2890052 00010503
	s_and_b32 s82, s82, 0xffffff                               // 000000002F7C: 8652FF52 00FFFFFF
	v_mul_lo_u32 v6, v5, s82                                   // 000000002F84: D2850006 0000A505
	v_readlane_b32 s82, v3, 3                                  // 000000002F8C: D2890052 00010703
	s_and_b32 s82, s82, 0xffffff                               // 000000002F94: 8652FF52 00FFFFFF
	v_mul_lo_u32 v7, v4, s82                                   // 000000002F9C: D2850007 0000A504
	v_add_u32_e32 v43, v6, v7                                  // 000000002FA4: 68560F06
	v_mul_lo_u32 v43, v43, s68                                 // 000000002FA8: D285002B 0000892B
	v_readlane_b32 s82, v3, 4                                  // 000000002FB0: D2890052 00010903
	s_and_b32 s82, s82, 0xffffff                               // 000000002FB8: 8652FF52 00FFFFFF
	v_mul_lo_u32 v6, v5, s82                                   // 000000002FC0: D2850006 0000A505
	v_readlane_b32 s82, v3, 5                                  // 000000002FC8: D2890052 00010B03
	s_and_b32 s82, s82, 0xffffff                               // 000000002FD0: 8652FF52 00FFFFFF
	v_mul_lo_u32 v7, v4, s82                                   // 000000002FD8: D2850007 0000A504
	v_add_u32_e32 v44, v6, v7                                  // 000000002FE0: 68580F06
	v_mul_lo_u32 v44, v44, s68                                 // 000000002FE4: D285002C 0000892C
	v_readlane_b32 s82, v3, 6                                  // 000000002FEC: D2890052 00010D03
	s_and_b32 s82, s82, 0xffffff                               // 000000002FF4: 8652FF52 00FFFFFF
	v_mul_lo_u32 v6, v5, s82                                   // 000000002FFC: D2850006 0000A505
	v_readlane_b32 s82, v3, 7                                  // 000000003004: D2890052 00010F03
	s_and_b32 s82, s82, 0xffffff                               // 00000000300C: 8652FF52 00FFFFFF
	v_mul_lo_u32 v7, v4, s82                                   // 000000003014: D2850007 0000A504
	v_add_u32_e32 v45, v6, v7                                  // 00000000301C: 685A0F06
	v_mul_lo_u32 v45, v45, s68                                 // 000000003020: D285002D 0000892D
	v_readlane_b32 s82, v3, 8                                  // 000000003028: D2890052 00011103
	s_and_b32 s82, s82, 0xffffff                               // 000000003030: 8652FF52 00FFFFFF
	v_mul_lo_u32 v6, v5, s82                                   // 000000003038: D2850006 0000A505
	v_readlane_b32 s82, v3, 9                                  // 000000003040: D2890052 00011303
	s_and_b32 s82, s82, 0xffffff                               // 000000003048: 8652FF52 00FFFFFF
	v_mul_lo_u32 v7, v4, s82                                   // 000000003050: D2850007 0000A504
	v_add_u32_e32 v46, v6, v7                                  // 000000003058: 685C0F06
	v_mul_lo_u32 v46, v46, s68                                 // 00000000305C: D285002E 0000892E
	v_readlane_b32 s82, v3, 10                                 // 000000003064: D2890052 00011503
	s_and_b32 s82, s82, 0xffffff                               // 00000000306C: 8652FF52 00FFFFFF
	v_mul_lo_u32 v6, v5, s82                                   // 000000003074: D2850006 0000A505
	v_readlane_b32 s82, v3, 11                                 // 00000000307C: D2890052 00011703
	s_and_b32 s82, s82, 0xffffff                               // 000000003084: 8652FF52 00FFFFFF
	v_mul_lo_u32 v7, v4, s82                                   // 00000000308C: D2850007 0000A504
	v_add_u32_e32 v47, v6, v7                                  // 000000003094: 685E0F06
	v_mul_lo_u32 v47, v47, s68                                 // 000000003098: D285002F 0000892F
	v_and_b32_e32 v4, 31, v0                                   // 0000000030A0: 2608009F
	v_lshlrev_b32_e32 v4, 2, v4                                // 0000000030A4: 24080882
	v_add_u32_e32 v42, v42, v4                                 // 0000000030A8: 6854092A
	v_add_u32_e32 v43, v43, v4                                 // 0000000030AC: 6856092B
	v_add_u32_e32 v44, v44, v4                                 // 0000000030B0: 6858092C
	v_add_u32_e32 v45, v45, v4                                 // 0000000030B4: 685A092D
	v_add_u32_e32 v46, v46, v4                                 // 0000000030B8: 685C092E
	v_add_u32_e32 v47, v47, v4                                 // 0000000030BC: 685E092F
	v_and_b32_e32 v30, 0xffffff, v30                           // 0000000030C0: 263C3CFF 00FFFFFF
	v_lshlrev_b32_e32 v30, 2, v30                              // 0000000030C8: 243C3C82
	v_and_b32_e32 v31, 0xffffff, v31                           // 0000000030CC: 263E3EFF 00FFFFFF
	v_lshlrev_b32_e32 v31, 2, v31                              // 0000000030D4: 243E3E82
	v_and_b32_e32 v32, 0xffffff, v32                           // 0000000030D8: 264040FF 00FFFFFF
	v_lshlrev_b32_e32 v32, 2, v32                              // 0000000030E0: 24404082
	s_lshl_b32 s3, s66, 2                                      // 0000000030E4: 8E038242
	buffer_load_dword v33, v30, s[28:31], 0 offen              // 0000000030E8: E0501000 8007211E
	buffer_load_dword v34, v31, s[28:31], 0 offen              // 0000000030F0: E0501000 8007221F
	buffer_load_dword v35, v32, s[28:31], 0 offen              // 0000000030F8: E0501000 80072320
	buffer_load_dword v24, v22, s[32:35], 0 offen              // 000000003100: E0501000 80081816
	s_mul_i32 s60, 4, s65                                      // 000000003108: 923C4184
	s_add_u32 s32, s60, s32                                    // 00000000310C: 8020203C
	s_addc_u32 s33, 0, s33                                     // 000000003110: 82212180
	buffer_load_dword v27, v22, s[32:35], 0 offen              // 000000003114: E0501000 80081B16
	buffer_load_dword v42, s[20:23], 0 offen lds               // 00000000311C: E0511000 8005002A
	s_add_u32 m0, 0x100, s48                                   // 000000003124: 807C30FF 00000100
	buffer_load_dword v43, s[20:23], 0 offen lds               // 00000000312C: E0511000 8005002B
	s_add_u32 m0, 0x200, s48                                   // 000000003134: 807C30FF 00000200
	buffer_load_dword v44, s[20:23], 0 offen lds               // 00000000313C: E0511000 8005002C
	s_add_u32 m0, 0x300, s48                                   // 000000003144: 807C30FF 00000300
	buffer_load_dword v45, s[20:23], 0 offen lds               // 00000000314C: E0511000 8005002D
	s_add_u32 m0, 0x400, s48                                   // 000000003154: 807C30FF 00000400
	buffer_load_dword v46, s[20:23], 0 offen lds               // 00000000315C: E0511000 8005002E
	s_add_u32 m0, 0x500, s48                                   // 000000003164: 807C30FF 00000500
	buffer_load_dword v47, s[20:23], 0 offen lds               // 00000000316C: E0511000 8005002F
	s_add_u32 m0, 0, s49                                       // 000000003174: 807C3180
	s_add_u32 s20, s57, s20                                    // 000000003178: 80141439
	s_addc_u32 s21, 0, s21                                     // 00000000317C: 82151580
	buffer_load_dwordx4 a[48:51], v48, s[24:27], 0 offen       // 000000003180: E05C1000 80863030
	buffer_load_dwordx4 a[52:55], v48, s[24:27], 0 offen offset:1024// 000000003188: E05C1400 80863430
	buffer_load_dwordx4 a[56:59], v49, s[24:27], 0 offen       // 000000003190: E05C1000 80863831
	buffer_load_dwordx4 a[60:63], v49, s[24:27], 0 offen offset:1024// 000000003198: E05C1400 80863C31
	s_add_u32 s24, s58, s24                                    // 0000000031A0: 8018183A
	s_addc_u32 s25, 0, s25                                     // 0000000031A4: 82191980
	buffer_load_dword v42, s[20:23], 0 offen lds               // 0000000031A8: E0511000 8005002A
	s_add_u32 m0, 0x100, s49                                   // 0000000031B0: 807C31FF 00000100
	buffer_load_dword v43, s[20:23], 0 offen lds               // 0000000031B8: E0511000 8005002B
	s_add_u32 m0, 0x200, s49                                   // 0000000031C0: 807C31FF 00000200
	buffer_load_dword v44, s[20:23], 0 offen lds               // 0000000031C8: E0511000 8005002C
	s_add_u32 m0, 0x300, s49                                   // 0000000031D0: 807C31FF 00000300
	buffer_load_dword v45, s[20:23], 0 offen lds               // 0000000031D8: E0511000 8005002D
	s_add_u32 m0, 0x400, s49                                   // 0000000031E0: 807C31FF 00000400
	buffer_load_dword v46, s[20:23], 0 offen lds               // 0000000031E8: E0511000 8005002E
	s_add_u32 m0, 0x500, s49                                   // 0000000031F0: 807C31FF 00000500
	buffer_load_dword v47, s[20:23], 0 offen lds               // 0000000031F8: E0511000 8005002F
	s_add_u32 m0, 0, s50                                       // 000000003200: 807C3280
	s_add_u32 s20, s57, s20                                    // 000000003204: 80141439
	s_addc_u32 s21, 0, s21                                     // 000000003208: 82151580
	buffer_load_dwordx4 a[64:67], v48, s[84:87], 0 offen       // 00000000320C: E05C1000 80954030
	buffer_load_dwordx4 a[68:71], v48, s[84:87], 0 offen offset:1024// 000000003214: E05C1400 80954430
	buffer_load_dwordx4 a[72:75], v49, s[84:87], 0 offen       // 00000000321C: E05C1000 80954831
	buffer_load_dwordx4 a[76:79], v49, s[84:87], 0 offen offset:1024// 000000003224: E05C1400 80954C31
	s_add_u32 s84, s83, s84                                    // 00000000322C: 80545453
	s_addc_u32 s85, 0, s85                                     // 000000003230: 82555580
	s_waitcnt vmcnt(14)                                        // 000000003234: BF8C0F7E
	s_barrier                                                  // 000000003238: BF8A0000
	ds_read_b128 a[0:3], v2                                    // 00000000323C: DBFE0000 00000002
	ds_read_b128 a[4:7], v2 offset:64                          // 000000003244: DBFE0040 04000002
	ds_read_b128 a[8:11], v2 offset:512                        // 00000000324C: DBFE0200 08000002
	ds_read_b128 a[12:15], v2 offset:576                       // 000000003254: DBFE0240 0C000002
	ds_read_b128 a[16:19], v2 offset:1024                      // 00000000325C: DBFE0400 10000002
	ds_read_b128 a[20:23], v2 offset:1088                      // 000000003264: DBFE0440 14000002
	s_cmp_lt_i32 s7, 2                                         // 00000000326C: BF048207
	s_cbranch_scc0 label_0DA2                                  // 000000003270: BF840B82

0000000000003274 <label_021D>:
	s_waitcnt vmcnt(10) lgkmcnt(0)                             // 000000003274: BF8C007A
	v_mfma_i32_16x16x32_i8 v[52:55], a[48:49], a[0:1], v[52:55]// 000000003278: D3D70034 1CD20130
	v_mfma_i32_16x16x32_i8 v[52:55], a[50:51], a[2:3], v[52:55]// 000000003280: D3D70034 1CD20532
	buffer_load_dwordx4 a[80:83], v48, s[24:27], 0 offen       // 000000003288: E05C1000 80865030
	v_mfma_i32_16x16x32_i8 v[52:55], a[52:53], a[4:5], v[52:55]// 000000003290: D3D70034 1CD20934
	v_mfma_i32_16x16x32_i8 v[52:55], a[54:55], a[6:7], v[52:55]// 000000003298: D3D70034 1CD20D36
	v_mfma_i32_16x16x32_i8 v[64:67], a[56:57], a[0:1], v[64:67]// 0000000032A0: D3D70040 1D020138
	v_mfma_i32_16x16x32_i8 v[64:67], a[58:59], a[2:3], v[64:67]// 0000000032A8: D3D70040 1D02053A
	buffer_load_dwordx4 a[84:87], v48, s[24:27], 0 offen offset:1024// 0000000032B0: E05C1400 80865430
	v_mfma_i32_16x16x32_i8 v[64:67], a[60:61], a[4:5], v[64:67]// 0000000032B8: D3D70040 1D02093C
	v_mfma_i32_16x16x32_i8 v[64:67], a[62:63], a[6:7], v[64:67]// 0000000032C0: D3D70040 1D020D3E
	v_mfma_i32_16x16x32_i8 v[56:59], a[48:49], a[8:9], v[56:59]// 0000000032C8: D3D70038 1CE21130
	v_mfma_i32_16x16x32_i8 v[56:59], a[50:51], a[10:11], v[56:59]// 0000000032D0: D3D70038 1CE21532
	buffer_load_dwordx4 a[88:91], v49, s[24:27], 0 offen       // 0000000032D8: E05C1000 80865831
	v_mfma_i32_16x16x32_i8 v[56:59], a[52:53], a[12:13], v[56:59]// 0000000032E0: D3D70038 1CE21934
	v_mfma_i32_16x16x32_i8 v[56:59], a[54:55], a[14:15], v[56:59]// 0000000032E8: D3D70038 1CE21D36
	v_mfma_i32_16x16x32_i8 v[68:71], a[56:57], a[8:9], v[68:71]// 0000000032F0: D3D70044 1D121138
	v_mfma_i32_16x16x32_i8 v[68:71], a[58:59], a[10:11], v[68:71]// 0000000032F8: D3D70044 1D12153A
	buffer_load_dwordx4 a[92:95], v49, s[24:27], 0 offen offset:1024// 000000003300: E05C1400 80865C31
	buffer_load_dword v42, s[20:23], 0 offen lds               // 000000003308: E0511000 8005002A
	s_add_u32 m0, 0x100, s50                                   // 000000003310: 807C32FF 00000100
	v_mfma_i32_16x16x32_i8 v[68:71], a[60:61], a[12:13], v[68:71]// 000000003318: D3D70044 1D12193C
	v_mfma_i32_16x16x32_i8 v[68:71], a[62:63], a[14:15], v[68:71]// 000000003320: D3D70044 1D121D3E
	buffer_load_dword v43, s[20:23], 0 offen lds               // 000000003328: E0511000 8005002B
	s_add_u32 m0, 0x200, s50                                   // 000000003330: 807C32FF 00000200
	v_mfma_i32_16x16x32_i8 v[60:63], a[48:49], a[16:17], v[60:63]// 000000003338: D3D7003C 1CF22130
	v_mfma_i32_16x16x32_i8 v[60:63], a[50:51], a[18:19], v[60:63]// 000000003340: D3D7003C 1CF22532
	buffer_load_dword v44, s[20:23], 0 offen lds               // 000000003348: E0511000 8005002C
	s_add_u32 m0, 0x300, s50                                   // 000000003350: 807C32FF 00000300
	v_mfma_i32_16x16x32_i8 v[60:63], a[52:53], a[20:21], v[60:63]// 000000003358: D3D7003C 1CF22934
	v_mfma_i32_16x16x32_i8 v[60:63], a[54:55], a[22:23], v[60:63]// 000000003360: D3D7003C 1CF22D36
	buffer_load_dword v45, s[20:23], 0 offen lds               // 000000003368: E0511000 8005002D
	s_add_u32 m0, 0x400, s50                                   // 000000003370: 807C32FF 00000400
	v_mfma_i32_16x16x32_i8 v[72:75], a[56:57], a[16:17], v[72:75]// 000000003378: D3D70048 1D222138
	v_mfma_i32_16x16x32_i8 v[72:75], a[58:59], a[18:19], v[72:75]// 000000003380: D3D70048 1D22253A
	buffer_load_dword v46, s[20:23], 0 offen lds               // 000000003388: E0511000 8005002E
	s_add_u32 m0, 0x500, s50                                   // 000000003390: 807C32FF 00000500
	v_mfma_i32_16x16x32_i8 v[72:75], a[60:61], a[20:21], v[72:75]// 000000003398: D3D70048 1D22293C
	v_mfma_i32_16x16x32_i8 v[72:75], a[62:63], a[22:23], v[72:75]// 0000000033A0: D3D70048 1D222D3E
	buffer_load_dword v47, s[20:23], 0 offen lds               // 0000000033A8: E0511000 8005002F
	s_add_u32 m0, 0, s48                                       // 0000000033B0: 807C3080
	s_waitcnt vmcnt(10)                                        // 0000000033B4: BF8C0F7A
	s_barrier                                                  // 0000000033B8: BF8A0000
	v_mfma_i32_16x16x32_i8 v[76:79], a[64:65], a[0:1], v[76:79]// 0000000033BC: D3D7004C 1D320140
	v_mfma_i32_16x16x32_i8 v[76:79], a[66:67], a[2:3], v[76:79]// 0000000033C4: D3D7004C 1D320542
	buffer_load_dwordx4 a[48:51], v48, s[84:87], 0 offen       // 0000000033CC: E05C1000 80953030
	v_mfma_i32_16x16x32_i8 v[76:79], a[68:69], a[4:5], v[76:79]// 0000000033D4: D3D7004C 1D320944
	v_mfma_i32_16x16x32_i8 v[76:79], a[70:71], a[6:7], v[76:79]// 0000000033DC: D3D7004C 1D320D46
	ds_read_b128 a[24:27], v2 offset:6272                      // 0000000033E4: DBFE1880 18000002
	ds_read_b128 a[28:31], v2 offset:6336                      // 0000000033EC: DBFE18C0 1C000002
	v_mfma_i32_16x16x32_i8 v[88:91], a[72:73], a[0:1], v[88:91]// 0000000033F4: D3D70058 1D620148
	v_mfma_i32_16x16x32_i8 v[88:91], a[74:75], a[2:3], v[88:91]// 0000000033FC: D3D70058 1D62054A
	buffer_load_dwordx4 a[52:55], v48, s[84:87], 0 offen offset:1024// 000000003404: E05C1400 80953430
	v_mfma_i32_16x16x32_i8 v[88:91], a[76:77], a[4:5], v[88:91]// 00000000340C: D3D70058 1D62094C
	v_mfma_i32_16x16x32_i8 v[88:91], a[78:79], a[6:7], v[88:91]// 000000003414: D3D70058 1D620D4E
	ds_read_b128 a[32:35], v2 offset:6784                      // 00000000341C: DBFE1A80 20000002
	ds_read_b128 a[36:39], v2 offset:6848                      // 000000003424: DBFE1AC0 24000002
	v_mfma_i32_16x16x32_i8 v[80:83], a[64:65], a[8:9], v[80:83]// 00000000342C: D3D70050 1D421140
	v_mfma_i32_16x16x32_i8 v[80:83], a[66:67], a[10:11], v[80:83]// 000000003434: D3D70050 1D421542
	buffer_load_dwordx4 a[56:59], v49, s[84:87], 0 offen       // 00000000343C: E05C1000 80953831
	v_mfma_i32_16x16x32_i8 v[80:83], a[68:69], a[12:13], v[80:83]// 000000003444: D3D70050 1D421944
	v_mfma_i32_16x16x32_i8 v[80:83], a[70:71], a[14:15], v[80:83]// 00000000344C: D3D70050 1D421D46
	ds_read_b128 a[40:43], v2 offset:7296                      // 000000003454: DBFE1C80 28000002
	ds_read_b128 a[44:47], v2 offset:7360                      // 00000000345C: DBFE1CC0 2C000002
	v_mfma_i32_16x16x32_i8 v[92:95], a[72:73], a[8:9], v[92:95]// 000000003464: D3D7005C 1D721148
	v_mfma_i32_16x16x32_i8 v[92:95], a[74:75], a[10:11], v[92:95]// 00000000346C: D3D7005C 1D72154A
	buffer_load_dwordx4 a[60:63], v49, s[84:87], 0 offen offset:1024// 000000003474: E05C1400 80953C31
	v_mfma_i32_16x16x32_i8 v[92:95], a[76:77], a[12:13], v[92:95]// 00000000347C: D3D7005C 1D72194C
	v_mfma_i32_16x16x32_i8 v[92:95], a[78:79], a[14:15], v[92:95]// 000000003484: D3D7005C 1D721D4E
	v_mfma_i32_16x16x32_i8 v[84:87], a[64:65], a[16:17], v[84:87]// 00000000348C: D3D70054 1D522140
	s_add_u32 s60, 0x180, s80                                  // 000000003494: 803C50FF 00000180
	s_cmp_lt_u32 s60, s81                                      // 00000000349C: BF0A513C
	s_cselect_b32 s57, s57, 0                                  // 0000000034A0: 85398039
	v_mfma_i32_16x16x32_i8 v[84:87], a[66:67], a[18:19], v[84:87]// 0000000034A4: D3D70054 1D522542
	s_add_u32 s60, 0x100, s80                                  // 0000000034AC: 803C50FF 00000100
	s_cmp_lt_u32 s60, s81                                      // 0000000034B4: BF0A513C
	s_cselect_b32 s58, s58, 0                                  // 0000000034B8: 853A803A
	v_mfma_i32_16x16x32_i8 v[84:87], a[68:69], a[20:21], v[84:87]// 0000000034BC: D3D70054 1D522944
	s_add_u32 s60, 0x100, s80                                  // 0000000034C4: 803C50FF 00000100
	s_cmp_lt_u32 s60, s81                                      // 0000000034CC: BF0A513C
	s_cselect_b32 s83, s83, 0                                  // 0000000034D0: 85538053
	v_mfma_i32_16x16x32_i8 v[84:87], a[70:71], a[22:23], v[84:87]// 0000000034D4: D3D70054 1D522D46
	s_add_u32 s24, s58, s24                                    // 0000000034DC: 8018183A
	s_addc_u32 s25, 0, s25                                     // 0000000034E0: 82191980
	v_mfma_i32_16x16x32_i8 v[96:99], a[72:73], a[16:17], v[96:99]// 0000000034E4: D3D70060 1D822148
	s_add_u32 s20, s57, s20                                    // 0000000034EC: 80141439
	s_addc_u32 s21, 0, s21                                     // 0000000034F0: 82151580
	v_mfma_i32_16x16x32_i8 v[96:99], a[74:75], a[18:19], v[96:99]// 0000000034F4: D3D70060 1D82254A
	s_add_u32 s84, s83, s84                                    // 0000000034FC: 80545453
	s_addc_u32 s85, 0, s85                                     // 000000003500: 82555580
	v_mfma_i32_16x16x32_i8 v[96:99], a[76:77], a[20:21], v[96:99]// 000000003504: D3D70060 1D82294C
	v_mfma_i32_16x16x32_i8 v[96:99], a[78:79], a[22:23], v[96:99]// 00000000350C: D3D70060 1D822D4E
	s_addk_i32 s80, 0x80                                       // 000000003514: B7500080
	s_cmp_lt_i32 s80, s81                                      // 000000003518: BF045150
	s_cbranch_scc0 label_0620                                  // 00000000351C: BF840358
	s_waitcnt vmcnt(10) lgkmcnt(0)                             // 000000003520: BF8C007A
	v_mfma_i32_16x16x32_i8 v[52:55], a[80:81], a[24:25], v[52:55]// 000000003524: D3D70034 1CD23150
	v_mfma_i32_16x16x32_i8 v[52:55], a[82:83], a[26:27], v[52:55]// 00000000352C: D3D70034 1CD23552
	buffer_load_dwordx4 a[64:67], v48, s[24:27], 0 offen       // 000000003534: E05C1000 80864030
	v_mfma_i32_16x16x32_i8 v[52:55], a[84:85], a[28:29], v[52:55]// 00000000353C: D3D70034 1CD23954
	v_mfma_i32_16x16x32_i8 v[52:55], a[86:87], a[30:31], v[52:55]// 000000003544: D3D70034 1CD23D56
	v_mfma_i32_16x16x32_i8 v[64:67], a[88:89], a[24:25], v[64:67]// 00000000354C: D3D70040 1D023158
	v_mfma_i32_16x16x32_i8 v[64:67], a[90:91], a[26:27], v[64:67]// 000000003554: D3D70040 1D02355A
	buffer_load_dwordx4 a[68:71], v48, s[24:27], 0 offen offset:1024// 00000000355C: E05C1400 80864430
	v_mfma_i32_16x16x32_i8 v[64:67], a[92:93], a[28:29], v[64:67]// 000000003564: D3D70040 1D02395C
	v_mfma_i32_16x16x32_i8 v[64:67], a[94:95], a[30:31], v[64:67]// 00000000356C: D3D70040 1D023D5E
	v_mfma_i32_16x16x32_i8 v[56:59], a[80:81], a[32:33], v[56:59]// 000000003574: D3D70038 1CE24150
	v_mfma_i32_16x16x32_i8 v[56:59], a[82:83], a[34:35], v[56:59]// 00000000357C: D3D70038 1CE24552
	buffer_load_dwordx4 a[72:75], v49, s[24:27], 0 offen       // 000000003584: E05C1000 80864831
	v_mfma_i32_16x16x32_i8 v[56:59], a[84:85], a[36:37], v[56:59]// 00000000358C: D3D70038 1CE24954
	v_mfma_i32_16x16x32_i8 v[56:59], a[86:87], a[38:39], v[56:59]// 000000003594: D3D70038 1CE24D56
	v_mfma_i32_16x16x32_i8 v[68:71], a[88:89], a[32:33], v[68:71]// 00000000359C: D3D70044 1D124158
	v_mfma_i32_16x16x32_i8 v[68:71], a[90:91], a[34:35], v[68:71]// 0000000035A4: D3D70044 1D12455A
	buffer_load_dwordx4 a[76:79], v49, s[24:27], 0 offen offset:1024// 0000000035AC: E05C1400 80864C31
	buffer_load_dword v42, s[20:23], 0 offen lds               // 0000000035B4: E0511000 8005002A
	s_add_u32 m0, 0x100, s48                                   // 0000000035BC: 807C30FF 00000100
	v_mfma_i32_16x16x32_i8 v[68:71], a[92:93], a[36:37], v[68:71]// 0000000035C4: D3D70044 1D12495C
	v_mfma_i32_16x16x32_i8 v[68:71], a[94:95], a[38:39], v[68:71]// 0000000035CC: D3D70044 1D124D5E
	buffer_load_dword v43, s[20:23], 0 offen lds               // 0000000035D4: E0511000 8005002B
	s_add_u32 m0, 0x200, s48                                   // 0000000035DC: 807C30FF 00000200
	v_mfma_i32_16x16x32_i8 v[60:63], a[80:81], a[40:41], v[60:63]// 0000000035E4: D3D7003C 1CF25150
	v_mfma_i32_16x16x32_i8 v[60:63], a[82:83], a[42:43], v[60:63]// 0000000035EC: D3D7003C 1CF25552
	buffer_load_dword v44, s[20:23], 0 offen lds               // 0000000035F4: E0511000 8005002C
	s_add_u32 m0, 0x300, s48                                   // 0000000035FC: 807C30FF 00000300
	v_mfma_i32_16x16x32_i8 v[60:63], a[84:85], a[44:45], v[60:63]// 000000003604: D3D7003C 1CF25954
	v_mfma_i32_16x16x32_i8 v[60:63], a[86:87], a[46:47], v[60:63]// 00000000360C: D3D7003C 1CF25D56
	buffer_load_dword v45, s[20:23], 0 offen lds               // 000000003614: E0511000 8005002D
	s_add_u32 m0, 0x400, s48                                   // 00000000361C: 807C30FF 00000400
	v_mfma_i32_16x16x32_i8 v[72:75], a[88:89], a[40:41], v[72:75]// 000000003624: D3D70048 1D225158
	v_mfma_i32_16x16x32_i8 v[72:75], a[90:91], a[42:43], v[72:75]// 00000000362C: D3D70048 1D22555A
	buffer_load_dword v46, s[20:23], 0 offen lds               // 000000003634: E0511000 8005002E
	s_add_u32 m0, 0x500, s48                                   // 00000000363C: 807C30FF 00000500
	v_mfma_i32_16x16x32_i8 v[72:75], a[92:93], a[44:45], v[72:75]// 000000003644: D3D70048 1D22595C
	v_mfma_i32_16x16x32_i8 v[72:75], a[94:95], a[46:47], v[72:75]// 00000000364C: D3D70048 1D225D5E
	buffer_load_dword v47, s[20:23], 0 offen lds               // 000000003654: E0511000 8005002F
	s_add_u32 m0, 0, s49                                       // 00000000365C: 807C3180
	s_waitcnt vmcnt(10)                                        // 000000003660: BF8C0F7A
	s_barrier                                                  // 000000003664: BF8A0000
	v_mfma_i32_16x16x32_i8 v[76:79], a[48:49], a[24:25], v[76:79]// 000000003668: D3D7004C 1D323130
	v_mfma_i32_16x16x32_i8 v[76:79], a[50:51], a[26:27], v[76:79]// 000000003670: D3D7004C 1D323532
	buffer_load_dwordx4 a[80:83], v48, s[84:87], 0 offen       // 000000003678: E05C1000 80955030
	v_mfma_i32_16x16x32_i8 v[76:79], a[52:53], a[28:29], v[76:79]// 000000003680: D3D7004C 1D323934
	v_mfma_i32_16x16x32_i8 v[76:79], a[54:55], a[30:31], v[76:79]// 000000003688: D3D7004C 1D323D36
	ds_read_b128 a[0:3], v2 offset:12544                       // 000000003690: DBFE3100 00000002
	ds_read_b128 a[4:7], v2 offset:12608                       // 000000003698: DBFE3140 04000002
	v_mfma_i32_16x16x32_i8 v[88:91], a[56:57], a[24:25], v[88:91]// 0000000036A0: D3D70058 1D623138
	v_mfma_i32_16x16x32_i8 v[88:91], a[58:59], a[26:27], v[88:91]// 0000000036A8: D3D70058 1D62353A
	buffer_load_dwordx4 a[84:87], v48, s[84:87], 0 offen offset:1024// 0000000036B0: E05C1400 80955430
	v_mfma_i32_16x16x32_i8 v[88:91], a[60:61], a[28:29], v[88:91]// 0000000036B8: D3D70058 1D62393C
	v_mfma_i32_16x16x32_i8 v[88:91], a[62:63], a[30:31], v[88:91]// 0000000036C0: D3D70058 1D623D3E
	ds_read_b128 a[8:11], v2 offset:13056                      // 0000000036C8: DBFE3300 08000002
	ds_read_b128 a[12:15], v2 offset:13120                     // 0000000036D0: DBFE3340 0C000002
	v_mfma_i32_16x16x32_i8 v[80:83], a[48:49], a[32:33], v[80:83]// 0000000036D8: D3D70050 1D424130
	v_mfma_i32_16x16x32_i8 v[80:83], a[50:51], a[34:35], v[80:83]// 0000000036E0: D3D70050 1D424532
	buffer_load_dwordx4 a[88:91], v49, s[84:87], 0 offen       // 0000000036E8: E05C1000 80955831
	v_mfma_i32_16x16x32_i8 v[80:83], a[52:53], a[36:37], v[80:83]// 0000000036F0: D3D70050 1D424934
	v_mfma_i32_16x16x32_i8 v[80:83], a[54:55], a[38:39], v[80:83]// 0000000036F8: D3D70050 1D424D36
	ds_read_b128 a[16:19], v2 offset:13568                     // 000000003700: DBFE3500 10000002
	ds_read_b128 a[20:23], v2 offset:13632                     // 000000003708: DBFE3540 14000002
	v_mfma_i32_16x16x32_i8 v[92:95], a[56:57], a[32:33], v[92:95]// 000000003710: D3D7005C 1D724138
	v_mfma_i32_16x16x32_i8 v[92:95], a[58:59], a[34:35], v[92:95]// 000000003718: D3D7005C 1D72453A
	buffer_load_dwordx4 a[92:95], v49, s[84:87], 0 offen offset:1024// 000000003720: E05C1400 80955C31
	v_mfma_i32_16x16x32_i8 v[92:95], a[60:61], a[36:37], v[92:95]// 000000003728: D3D7005C 1D72493C
	v_mfma_i32_16x16x32_i8 v[92:95], a[62:63], a[38:39], v[92:95]// 000000003730: D3D7005C 1D724D3E
	v_mfma_i32_16x16x32_i8 v[84:87], a[48:49], a[40:41], v[84:87]// 000000003738: D3D70054 1D525130
	s_add_u32 s60, 0x180, s80                                  // 000000003740: 803C50FF 00000180
	s_cmp_lt_u32 s60, s81                                      // 000000003748: BF0A513C
	s_cselect_b32 s57, s57, 0                                  // 00000000374C: 85398039
	v_mfma_i32_16x16x32_i8 v[84:87], a[50:51], a[42:43], v[84:87]// 000000003750: D3D70054 1D525532
	s_add_u32 s60, 0x100, s80                                  // 000000003758: 803C50FF 00000100
	s_cmp_lt_u32 s60, s81                                      // 000000003760: BF0A513C
	s_cselect_b32 s58, s58, 0                                  // 000000003764: 853A803A
	v_mfma_i32_16x16x32_i8 v[84:87], a[52:53], a[44:45], v[84:87]// 000000003768: D3D70054 1D525934
	s_add_u32 s60, 0x100, s80                                  // 000000003770: 803C50FF 00000100
	s_cmp_lt_u32 s60, s81                                      // 000000003778: BF0A513C
	s_cselect_b32 s83, s83, 0                                  // 00000000377C: 85538053
	v_mfma_i32_16x16x32_i8 v[84:87], a[54:55], a[46:47], v[84:87]// 000000003780: D3D70054 1D525D36
	s_add_u32 s24, s58, s24                                    // 000000003788: 8018183A
	s_addc_u32 s25, 0, s25                                     // 00000000378C: 82191980
	v_mfma_i32_16x16x32_i8 v[96:99], a[56:57], a[40:41], v[96:99]// 000000003790: D3D70060 1D825138
	s_add_u32 s20, s57, s20                                    // 000000003798: 80141439
	s_addc_u32 s21, 0, s21                                     // 00000000379C: 82151580
	v_mfma_i32_16x16x32_i8 v[96:99], a[58:59], a[42:43], v[96:99]// 0000000037A0: D3D70060 1D82553A
	s_add_u32 s84, s83, s84                                    // 0000000037A8: 80545453
	s_addc_u32 s85, 0, s85                                     // 0000000037AC: 82555580
	v_mfma_i32_16x16x32_i8 v[96:99], a[60:61], a[44:45], v[96:99]// 0000000037B0: D3D70060 1D82593C
	v_mfma_i32_16x16x32_i8 v[96:99], a[62:63], a[46:47], v[96:99]// 0000000037B8: D3D70060 1D825D3E
	s_addk_i32 s80, 0x80                                       // 0000000037C0: B7500080
	s_cmp_lt_i32 s80, s81                                      // 0000000037C4: BF045150
	s_cbranch_scc0 label_0620                                  // 0000000037C8: BF8402AD
	s_waitcnt vmcnt(10) lgkmcnt(0)                             // 0000000037CC: BF8C007A
	v_mfma_i32_16x16x32_i8 v[52:55], a[64:65], a[0:1], v[52:55]// 0000000037D0: D3D70034 1CD20140
	v_mfma_i32_16x16x32_i8 v[52:55], a[66:67], a[2:3], v[52:55]// 0000000037D8: D3D70034 1CD20542
	buffer_load_dwordx4 a[48:51], v48, s[24:27], 0 offen       // 0000000037E0: E05C1000 80863030
	v_mfma_i32_16x16x32_i8 v[52:55], a[68:69], a[4:5], v[52:55]// 0000000037E8: D3D70034 1CD20944
	v_mfma_i32_16x16x32_i8 v[52:55], a[70:71], a[6:7], v[52:55]// 0000000037F0: D3D70034 1CD20D46
	v_mfma_i32_16x16x32_i8 v[64:67], a[72:73], a[0:1], v[64:67]// 0000000037F8: D3D70040 1D020148
	v_mfma_i32_16x16x32_i8 v[64:67], a[74:75], a[2:3], v[64:67]// 000000003800: D3D70040 1D02054A
	buffer_load_dwordx4 a[52:55], v48, s[24:27], 0 offen offset:1024// 000000003808: E05C1400 80863430
	v_mfma_i32_16x16x32_i8 v[64:67], a[76:77], a[4:5], v[64:67]// 000000003810: D3D70040 1D02094C
	v_mfma_i32_16x16x32_i8 v[64:67], a[78:79], a[6:7], v[64:67]// 000000003818: D3D70040 1D020D4E
	v_mfma_i32_16x16x32_i8 v[56:59], a[64:65], a[8:9], v[56:59]// 000000003820: D3D70038 1CE21140
	v_mfma_i32_16x16x32_i8 v[56:59], a[66:67], a[10:11], v[56:59]// 000000003828: D3D70038 1CE21542
	buffer_load_dwordx4 a[56:59], v49, s[24:27], 0 offen       // 000000003830: E05C1000 80863831
	v_mfma_i32_16x16x32_i8 v[56:59], a[68:69], a[12:13], v[56:59]// 000000003838: D3D70038 1CE21944
	v_mfma_i32_16x16x32_i8 v[56:59], a[70:71], a[14:15], v[56:59]// 000000003840: D3D70038 1CE21D46
	v_mfma_i32_16x16x32_i8 v[68:71], a[72:73], a[8:9], v[68:71]// 000000003848: D3D70044 1D121148
	v_mfma_i32_16x16x32_i8 v[68:71], a[74:75], a[10:11], v[68:71]// 000000003850: D3D70044 1D12154A
	buffer_load_dwordx4 a[60:63], v49, s[24:27], 0 offen offset:1024// 000000003858: E05C1400 80863C31
	buffer_load_dword v42, s[20:23], 0 offen lds               // 000000003860: E0511000 8005002A
	s_add_u32 m0, 0x100, s49                                   // 000000003868: 807C31FF 00000100
	v_mfma_i32_16x16x32_i8 v[68:71], a[76:77], a[12:13], v[68:71]// 000000003870: D3D70044 1D12194C
	v_mfma_i32_16x16x32_i8 v[68:71], a[78:79], a[14:15], v[68:71]// 000000003878: D3D70044 1D121D4E
	buffer_load_dword v43, s[20:23], 0 offen lds               // 000000003880: E0511000 8005002B
	s_add_u32 m0, 0x200, s49                                   // 000000003888: 807C31FF 00000200
	v_mfma_i32_16x16x32_i8 v[60:63], a[64:65], a[16:17], v[60:63]// 000000003890: D3D7003C 1CF22140
	v_mfma_i32_16x16x32_i8 v[60:63], a[66:67], a[18:19], v[60:63]// 000000003898: D3D7003C 1CF22542
	buffer_load_dword v44, s[20:23], 0 offen lds               // 0000000038A0: E0511000 8005002C
	s_add_u32 m0, 0x300, s49                                   // 0000000038A8: 807C31FF 00000300
	v_mfma_i32_16x16x32_i8 v[60:63], a[68:69], a[20:21], v[60:63]// 0000000038B0: D3D7003C 1CF22944
	v_mfma_i32_16x16x32_i8 v[60:63], a[70:71], a[22:23], v[60:63]// 0000000038B8: D3D7003C 1CF22D46
	buffer_load_dword v45, s[20:23], 0 offen lds               // 0000000038C0: E0511000 8005002D
	s_add_u32 m0, 0x400, s49                                   // 0000000038C8: 807C31FF 00000400
	v_mfma_i32_16x16x32_i8 v[72:75], a[72:73], a[16:17], v[72:75]// 0000000038D0: D3D70048 1D222148
	v_mfma_i32_16x16x32_i8 v[72:75], a[74:75], a[18:19], v[72:75]// 0000000038D8: D3D70048 1D22254A
	buffer_load_dword v46, s[20:23], 0 offen lds               // 0000000038E0: E0511000 8005002E
	s_add_u32 m0, 0x500, s49                                   // 0000000038E8: 807C31FF 00000500
	v_mfma_i32_16x16x32_i8 v[72:75], a[76:77], a[20:21], v[72:75]// 0000000038F0: D3D70048 1D22294C
	v_mfma_i32_16x16x32_i8 v[72:75], a[78:79], a[22:23], v[72:75]// 0000000038F8: D3D70048 1D222D4E
	buffer_load_dword v47, s[20:23], 0 offen lds               // 000000003900: E0511000 8005002F
	s_add_u32 m0, 0, s50                                       // 000000003908: 807C3280
	s_waitcnt vmcnt(10)                                        // 00000000390C: BF8C0F7A
	s_barrier                                                  // 000000003910: BF8A0000
	v_mfma_i32_16x16x32_i8 v[76:79], a[80:81], a[0:1], v[76:79]// 000000003914: D3D7004C 1D320150
	v_mfma_i32_16x16x32_i8 v[76:79], a[82:83], a[2:3], v[76:79]// 00000000391C: D3D7004C 1D320552
	buffer_load_dwordx4 a[64:67], v48, s[84:87], 0 offen       // 000000003924: E05C1000 80954030
	v_mfma_i32_16x16x32_i8 v[76:79], a[84:85], a[4:5], v[76:79]// 00000000392C: D3D7004C 1D320954
	v_mfma_i32_16x16x32_i8 v[76:79], a[86:87], a[6:7], v[76:79]// 000000003934: D3D7004C 1D320D56
	ds_read_b128 a[24:27], v2                                  // 00000000393C: DBFE0000 18000002
	ds_read_b128 a[28:31], v2 offset:64                        // 000000003944: DBFE0040 1C000002
	v_mfma_i32_16x16x32_i8 v[88:91], a[88:89], a[0:1], v[88:91]// 00000000394C: D3D70058 1D620158
	v_mfma_i32_16x16x32_i8 v[88:91], a[90:91], a[2:3], v[88:91]// 000000003954: D3D70058 1D62055A
	buffer_load_dwordx4 a[68:71], v48, s[84:87], 0 offen offset:1024// 00000000395C: E05C1400 80954430
	v_mfma_i32_16x16x32_i8 v[88:91], a[92:93], a[4:5], v[88:91]// 000000003964: D3D70058 1D62095C
	v_mfma_i32_16x16x32_i8 v[88:91], a[94:95], a[6:7], v[88:91]// 00000000396C: D3D70058 1D620D5E
	ds_read_b128 a[32:35], v2 offset:512                       // 000000003974: DBFE0200 20000002
	ds_read_b128 a[36:39], v2 offset:576                       // 00000000397C: DBFE0240 24000002
	v_mfma_i32_16x16x32_i8 v[80:83], a[80:81], a[8:9], v[80:83]// 000000003984: D3D70050 1D421150
	v_mfma_i32_16x16x32_i8 v[80:83], a[82:83], a[10:11], v[80:83]// 00000000398C: D3D70050 1D421552
	buffer_load_dwordx4 a[72:75], v49, s[84:87], 0 offen       // 000000003994: E05C1000 80954831
	v_mfma_i32_16x16x32_i8 v[80:83], a[84:85], a[12:13], v[80:83]// 00000000399C: D3D70050 1D421954
	v_mfma_i32_16x16x32_i8 v[80:83], a[86:87], a[14:15], v[80:83]// 0000000039A4: D3D70050 1D421D56
	ds_read_b128 a[40:43], v2 offset:1024                      // 0000000039AC: DBFE0400 28000002
	ds_read_b128 a[44:47], v2 offset:1088                      // 0000000039B4: DBFE0440 2C000002
	v_mfma_i32_16x16x32_i8 v[92:95], a[88:89], a[8:9], v[92:95]// 0000000039BC: D3D7005C 1D721158
	v_mfma_i32_16x16x32_i8 v[92:95], a[90:91], a[10:11], v[92:95]// 0000000039C4: D3D7005C 1D72155A
	buffer_load_dwordx4 a[76:79], v49, s[84:87], 0 offen offset:1024// 0000000039CC: E05C1400 80954C31
	v_mfma_i32_16x16x32_i8 v[92:95], a[92:93], a[12:13], v[92:95]// 0000000039D4: D3D7005C 1D72195C
	v_mfma_i32_16x16x32_i8 v[92:95], a[94:95], a[14:15], v[92:95]// 0000000039DC: D3D7005C 1D721D5E
	v_mfma_i32_16x16x32_i8 v[84:87], a[80:81], a[16:17], v[84:87]// 0000000039E4: D3D70054 1D522150
	s_add_u32 s60, 0x180, s80                                  // 0000000039EC: 803C50FF 00000180
	s_cmp_lt_u32 s60, s81                                      // 0000000039F4: BF0A513C
	s_cselect_b32 s57, s57, 0                                  // 0000000039F8: 85398039
	v_mfma_i32_16x16x32_i8 v[84:87], a[82:83], a[18:19], v[84:87]// 0000000039FC: D3D70054 1D522552
	s_add_u32 s60, 0x100, s80                                  // 000000003A04: 803C50FF 00000100
	s_cmp_lt_u32 s60, s81                                      // 000000003A0C: BF0A513C
	s_cselect_b32 s58, s58, 0                                  // 000000003A10: 853A803A
	v_mfma_i32_16x16x32_i8 v[84:87], a[84:85], a[20:21], v[84:87]// 000000003A14: D3D70054 1D522954
	s_add_u32 s60, 0x100, s80                                  // 000000003A1C: 803C50FF 00000100
	s_cmp_lt_u32 s60, s81                                      // 000000003A24: BF0A513C
	s_cselect_b32 s83, s83, 0                                  // 000000003A28: 85538053
	v_mfma_i32_16x16x32_i8 v[84:87], a[86:87], a[22:23], v[84:87]// 000000003A2C: D3D70054 1D522D56
	s_add_u32 s24, s58, s24                                    // 000000003A34: 8018183A
	s_addc_u32 s25, 0, s25                                     // 000000003A38: 82191980
	v_mfma_i32_16x16x32_i8 v[96:99], a[88:89], a[16:17], v[96:99]// 000000003A3C: D3D70060 1D822158
	s_add_u32 s20, s57, s20                                    // 000000003A44: 80141439
	s_addc_u32 s21, 0, s21                                     // 000000003A48: 82151580
	v_mfma_i32_16x16x32_i8 v[96:99], a[90:91], a[18:19], v[96:99]// 000000003A4C: D3D70060 1D82255A
	s_add_u32 s84, s83, s84                                    // 000000003A54: 80545453
	s_addc_u32 s85, 0, s85                                     // 000000003A58: 82555580
	v_mfma_i32_16x16x32_i8 v[96:99], a[92:93], a[20:21], v[96:99]// 000000003A5C: D3D70060 1D82295C
	v_mfma_i32_16x16x32_i8 v[96:99], a[94:95], a[22:23], v[96:99]// 000000003A64: D3D70060 1D822D5E
	s_addk_i32 s80, 0x80                                       // 000000003A6C: B7500080
	s_cmp_lt_i32 s80, s81                                      // 000000003A70: BF045150
	s_cbranch_scc0 label_0620                                  // 000000003A74: BF840202
	s_waitcnt vmcnt(10) lgkmcnt(0)                             // 000000003A78: BF8C007A
	v_mfma_i32_16x16x32_i8 v[52:55], a[48:49], a[24:25], v[52:55]// 000000003A7C: D3D70034 1CD23130
	v_mfma_i32_16x16x32_i8 v[52:55], a[50:51], a[26:27], v[52:55]// 000000003A84: D3D70034 1CD23532
	buffer_load_dwordx4 a[80:83], v48, s[24:27], 0 offen       // 000000003A8C: E05C1000 80865030
	v_mfma_i32_16x16x32_i8 v[52:55], a[52:53], a[28:29], v[52:55]// 000000003A94: D3D70034 1CD23934
	v_mfma_i32_16x16x32_i8 v[52:55], a[54:55], a[30:31], v[52:55]// 000000003A9C: D3D70034 1CD23D36
	v_mfma_i32_16x16x32_i8 v[64:67], a[56:57], a[24:25], v[64:67]// 000000003AA4: D3D70040 1D023138
	v_mfma_i32_16x16x32_i8 v[64:67], a[58:59], a[26:27], v[64:67]// 000000003AAC: D3D70040 1D02353A
	buffer_load_dwordx4 a[84:87], v48, s[24:27], 0 offen offset:1024// 000000003AB4: E05C1400 80865430
	v_mfma_i32_16x16x32_i8 v[64:67], a[60:61], a[28:29], v[64:67]// 000000003ABC: D3D70040 1D02393C
	v_mfma_i32_16x16x32_i8 v[64:67], a[62:63], a[30:31], v[64:67]// 000000003AC4: D3D70040 1D023D3E
	v_mfma_i32_16x16x32_i8 v[56:59], a[48:49], a[32:33], v[56:59]// 000000003ACC: D3D70038 1CE24130
	v_mfma_i32_16x16x32_i8 v[56:59], a[50:51], a[34:35], v[56:59]// 000000003AD4: D3D70038 1CE24532
	buffer_load_dwordx4 a[88:91], v49, s[24:27], 0 offen       // 000000003ADC: E05C1000 80865831
	v_mfma_i32_16x16x32_i8 v[56:59], a[52:53], a[36:37], v[56:59]// 000000003AE4: D3D70038 1CE24934
	v_mfma_i32_16x16x32_i8 v[56:59], a[54:55], a[38:39], v[56:59]// 000000003AEC: D3D70038 1CE24D36
	v_mfma_i32_16x16x32_i8 v[68:71], a[56:57], a[32:33], v[68:71]// 000000003AF4: D3D70044 1D124138
	v_mfma_i32_16x16x32_i8 v[68:71], a[58:59], a[34:35], v[68:71]// 000000003AFC: D3D70044 1D12453A
	buffer_load_dwordx4 a[92:95], v49, s[24:27], 0 offen offset:1024// 000000003B04: E05C1400 80865C31
	buffer_load_dword v42, s[20:23], 0 offen lds               // 000000003B0C: E0511000 8005002A
	s_add_u32 m0, 0x100, s50                                   // 000000003B14: 807C32FF 00000100
	v_mfma_i32_16x16x32_i8 v[68:71], a[60:61], a[36:37], v[68:71]// 000000003B1C: D3D70044 1D12493C
	v_mfma_i32_16x16x32_i8 v[68:71], a[62:63], a[38:39], v[68:71]// 000000003B24: D3D70044 1D124D3E
	buffer_load_dword v43, s[20:23], 0 offen lds               // 000000003B2C: E0511000 8005002B
	s_add_u32 m0, 0x200, s50                                   // 000000003B34: 807C32FF 00000200
	v_mfma_i32_16x16x32_i8 v[60:63], a[48:49], a[40:41], v[60:63]// 000000003B3C: D3D7003C 1CF25130
	v_mfma_i32_16x16x32_i8 v[60:63], a[50:51], a[42:43], v[60:63]// 000000003B44: D3D7003C 1CF25532
	buffer_load_dword v44, s[20:23], 0 offen lds               // 000000003B4C: E0511000 8005002C
	s_add_u32 m0, 0x300, s50                                   // 000000003B54: 807C32FF 00000300
	v_mfma_i32_16x16x32_i8 v[60:63], a[52:53], a[44:45], v[60:63]// 000000003B5C: D3D7003C 1CF25934
	v_mfma_i32_16x16x32_i8 v[60:63], a[54:55], a[46:47], v[60:63]// 000000003B64: D3D7003C 1CF25D36
	buffer_load_dword v45, s[20:23], 0 offen lds               // 000000003B6C: E0511000 8005002D
	s_add_u32 m0, 0x400, s50                                   // 000000003B74: 807C32FF 00000400
	v_mfma_i32_16x16x32_i8 v[72:75], a[56:57], a[40:41], v[72:75]// 000000003B7C: D3D70048 1D225138
	v_mfma_i32_16x16x32_i8 v[72:75], a[58:59], a[42:43], v[72:75]// 000000003B84: D3D70048 1D22553A
	buffer_load_dword v46, s[20:23], 0 offen lds               // 000000003B8C: E0511000 8005002E
	s_add_u32 m0, 0x500, s50                                   // 000000003B94: 807C32FF 00000500
	v_mfma_i32_16x16x32_i8 v[72:75], a[60:61], a[44:45], v[72:75]// 000000003B9C: D3D70048 1D22593C
	v_mfma_i32_16x16x32_i8 v[72:75], a[62:63], a[46:47], v[72:75]// 000000003BA4: D3D70048 1D225D3E
	buffer_load_dword v47, s[20:23], 0 offen lds               // 000000003BAC: E0511000 8005002F
	s_add_u32 m0, 0, s48                                       // 000000003BB4: 807C3080
	s_waitcnt vmcnt(10)                                        // 000000003BB8: BF8C0F7A
	s_barrier                                                  // 000000003BBC: BF8A0000
	v_mfma_i32_16x16x32_i8 v[76:79], a[64:65], a[24:25], v[76:79]// 000000003BC0: D3D7004C 1D323140
	v_mfma_i32_16x16x32_i8 v[76:79], a[66:67], a[26:27], v[76:79]// 000000003BC8: D3D7004C 1D323542
	buffer_load_dwordx4 a[48:51], v48, s[84:87], 0 offen       // 000000003BD0: E05C1000 80953030
	v_mfma_i32_16x16x32_i8 v[76:79], a[68:69], a[28:29], v[76:79]// 000000003BD8: D3D7004C 1D323944
	v_mfma_i32_16x16x32_i8 v[76:79], a[70:71], a[30:31], v[76:79]// 000000003BE0: D3D7004C 1D323D46
	ds_read_b128 a[0:3], v2 offset:6272                        // 000000003BE8: DBFE1880 00000002
	ds_read_b128 a[4:7], v2 offset:6336                        // 000000003BF0: DBFE18C0 04000002
	v_mfma_i32_16x16x32_i8 v[88:91], a[72:73], a[24:25], v[88:91]// 000000003BF8: D3D70058 1D623148
	v_mfma_i32_16x16x32_i8 v[88:91], a[74:75], a[26:27], v[88:91]// 000000003C00: D3D70058 1D62354A
	buffer_load_dwordx4 a[52:55], v48, s[84:87], 0 offen offset:1024// 000000003C08: E05C1400 80953430
	v_mfma_i32_16x16x32_i8 v[88:91], a[76:77], a[28:29], v[88:91]// 000000003C10: D3D70058 1D62394C
	v_mfma_i32_16x16x32_i8 v[88:91], a[78:79], a[30:31], v[88:91]// 000000003C18: D3D70058 1D623D4E
	ds_read_b128 a[8:11], v2 offset:6784                       // 000000003C20: DBFE1A80 08000002
	ds_read_b128 a[12:15], v2 offset:6848                      // 000000003C28: DBFE1AC0 0C000002
	v_mfma_i32_16x16x32_i8 v[80:83], a[64:65], a[32:33], v[80:83]// 000000003C30: D3D70050 1D424140
	v_mfma_i32_16x16x32_i8 v[80:83], a[66:67], a[34:35], v[80:83]// 000000003C38: D3D70050 1D424542
	buffer_load_dwordx4 a[56:59], v49, s[84:87], 0 offen       // 000000003C40: E05C1000 80953831
	v_mfma_i32_16x16x32_i8 v[80:83], a[68:69], a[36:37], v[80:83]// 000000003C48: D3D70050 1D424944
	v_mfma_i32_16x16x32_i8 v[80:83], a[70:71], a[38:39], v[80:83]// 000000003C50: D3D70050 1D424D46
	ds_read_b128 a[16:19], v2 offset:7296                      // 000000003C58: DBFE1C80 10000002
	ds_read_b128 a[20:23], v2 offset:7360                      // 000000003C60: DBFE1CC0 14000002
	v_mfma_i32_16x16x32_i8 v[92:95], a[72:73], a[32:33], v[92:95]// 000000003C68: D3D7005C 1D724148
	v_mfma_i32_16x16x32_i8 v[92:95], a[74:75], a[34:35], v[92:95]// 000000003C70: D3D7005C 1D72454A
	buffer_load_dwordx4 a[60:63], v49, s[84:87], 0 offen offset:1024// 000000003C78: E05C1400 80953C31
	v_mfma_i32_16x16x32_i8 v[92:95], a[76:77], a[36:37], v[92:95]// 000000003C80: D3D7005C 1D72494C
	v_mfma_i32_16x16x32_i8 v[92:95], a[78:79], a[38:39], v[92:95]// 000000003C88: D3D7005C 1D724D4E
	v_mfma_i32_16x16x32_i8 v[84:87], a[64:65], a[40:41], v[84:87]// 000000003C90: D3D70054 1D525140
	s_add_u32 s60, 0x180, s80                                  // 000000003C98: 803C50FF 00000180
	s_cmp_lt_u32 s60, s81                                      // 000000003CA0: BF0A513C
	s_cselect_b32 s57, s57, 0                                  // 000000003CA4: 85398039
	v_mfma_i32_16x16x32_i8 v[84:87], a[66:67], a[42:43], v[84:87]// 000000003CA8: D3D70054 1D525542
	s_add_u32 s60, 0x100, s80                                  // 000000003CB0: 803C50FF 00000100
	s_cmp_lt_u32 s60, s81                                      // 000000003CB8: BF0A513C
	s_cselect_b32 s58, s58, 0                                  // 000000003CBC: 853A803A
	v_mfma_i32_16x16x32_i8 v[84:87], a[68:69], a[44:45], v[84:87]// 000000003CC0: D3D70054 1D525944
	s_add_u32 s60, 0x100, s80                                  // 000000003CC8: 803C50FF 00000100
	s_cmp_lt_u32 s60, s81                                      // 000000003CD0: BF0A513C
	s_cselect_b32 s83, s83, 0                                  // 000000003CD4: 85538053
	v_mfma_i32_16x16x32_i8 v[84:87], a[70:71], a[46:47], v[84:87]// 000000003CD8: D3D70054 1D525D46
	s_add_u32 s24, s58, s24                                    // 000000003CE0: 8018183A
	s_addc_u32 s25, 0, s25                                     // 000000003CE4: 82191980
	v_mfma_i32_16x16x32_i8 v[96:99], a[72:73], a[40:41], v[96:99]// 000000003CE8: D3D70060 1D825148
	s_add_u32 s20, s57, s20                                    // 000000003CF0: 80141439
	s_addc_u32 s21, 0, s21                                     // 000000003CF4: 82151580
	v_mfma_i32_16x16x32_i8 v[96:99], a[74:75], a[42:43], v[96:99]// 000000003CF8: D3D70060 1D82554A
	s_add_u32 s84, s83, s84                                    // 000000003D00: 80545453
	s_addc_u32 s85, 0, s85                                     // 000000003D04: 82555580
	v_mfma_i32_16x16x32_i8 v[96:99], a[76:77], a[44:45], v[96:99]// 000000003D08: D3D70060 1D82594C
	v_mfma_i32_16x16x32_i8 v[96:99], a[78:79], a[46:47], v[96:99]// 000000003D10: D3D70060 1D825D4E
	s_addk_i32 s80, 0x80                                       // 000000003D18: B7500080
	s_cmp_lt_i32 s80, s81                                      // 000000003D1C: BF045150
	s_cbranch_scc0 label_0620                                  // 000000003D20: BF840157
	s_waitcnt vmcnt(10) lgkmcnt(0)                             // 000000003D24: BF8C007A
	v_mfma_i32_16x16x32_i8 v[52:55], a[80:81], a[0:1], v[52:55]// 000000003D28: D3D70034 1CD20150
	v_mfma_i32_16x16x32_i8 v[52:55], a[82:83], a[2:3], v[52:55]// 000000003D30: D3D70034 1CD20552
	buffer_load_dwordx4 a[64:67], v48, s[24:27], 0 offen       // 000000003D38: E05C1000 80864030
	v_mfma_i32_16x16x32_i8 v[52:55], a[84:85], a[4:5], v[52:55]// 000000003D40: D3D70034 1CD20954
	v_mfma_i32_16x16x32_i8 v[52:55], a[86:87], a[6:7], v[52:55]// 000000003D48: D3D70034 1CD20D56
	v_mfma_i32_16x16x32_i8 v[64:67], a[88:89], a[0:1], v[64:67]// 000000003D50: D3D70040 1D020158
	v_mfma_i32_16x16x32_i8 v[64:67], a[90:91], a[2:3], v[64:67]// 000000003D58: D3D70040 1D02055A
	buffer_load_dwordx4 a[68:71], v48, s[24:27], 0 offen offset:1024// 000000003D60: E05C1400 80864430
	v_mfma_i32_16x16x32_i8 v[64:67], a[92:93], a[4:5], v[64:67]// 000000003D68: D3D70040 1D02095C
	v_mfma_i32_16x16x32_i8 v[64:67], a[94:95], a[6:7], v[64:67]// 000000003D70: D3D70040 1D020D5E
	v_mfma_i32_16x16x32_i8 v[56:59], a[80:81], a[8:9], v[56:59]// 000000003D78: D3D70038 1CE21150
	v_mfma_i32_16x16x32_i8 v[56:59], a[82:83], a[10:11], v[56:59]// 000000003D80: D3D70038 1CE21552
	buffer_load_dwordx4 a[72:75], v49, s[24:27], 0 offen       // 000000003D88: E05C1000 80864831
	v_mfma_i32_16x16x32_i8 v[56:59], a[84:85], a[12:13], v[56:59]// 000000003D90: D3D70038 1CE21954
	v_mfma_i32_16x16x32_i8 v[56:59], a[86:87], a[14:15], v[56:59]// 000000003D98: D3D70038 1CE21D56
	v_mfma_i32_16x16x32_i8 v[68:71], a[88:89], a[8:9], v[68:71]// 000000003DA0: D3D70044 1D121158
	v_mfma_i32_16x16x32_i8 v[68:71], a[90:91], a[10:11], v[68:71]// 000000003DA8: D3D70044 1D12155A
	buffer_load_dwordx4 a[76:79], v49, s[24:27], 0 offen offset:1024// 000000003DB0: E05C1400 80864C31
	buffer_load_dword v42, s[20:23], 0 offen lds               // 000000003DB8: E0511000 8005002A
	s_add_u32 m0, 0x100, s48                                   // 000000003DC0: 807C30FF 00000100
	v_mfma_i32_16x16x32_i8 v[68:71], a[92:93], a[12:13], v[68:71]// 000000003DC8: D3D70044 1D12195C
	v_mfma_i32_16x16x32_i8 v[68:71], a[94:95], a[14:15], v[68:71]// 000000003DD0: D3D70044 1D121D5E
	buffer_load_dword v43, s[20:23], 0 offen lds               // 000000003DD8: E0511000 8005002B
	s_add_u32 m0, 0x200, s48                                   // 000000003DE0: 807C30FF 00000200
	v_mfma_i32_16x16x32_i8 v[60:63], a[80:81], a[16:17], v[60:63]// 000000003DE8: D3D7003C 1CF22150
	v_mfma_i32_16x16x32_i8 v[60:63], a[82:83], a[18:19], v[60:63]// 000000003DF0: D3D7003C 1CF22552
	buffer_load_dword v44, s[20:23], 0 offen lds               // 000000003DF8: E0511000 8005002C
	s_add_u32 m0, 0x300, s48                                   // 000000003E00: 807C30FF 00000300
	v_mfma_i32_16x16x32_i8 v[60:63], a[84:85], a[20:21], v[60:63]// 000000003E08: D3D7003C 1CF22954
	v_mfma_i32_16x16x32_i8 v[60:63], a[86:87], a[22:23], v[60:63]// 000000003E10: D3D7003C 1CF22D56
	buffer_load_dword v45, s[20:23], 0 offen lds               // 000000003E18: E0511000 8005002D
	s_add_u32 m0, 0x400, s48                                   // 000000003E20: 807C30FF 00000400
	v_mfma_i32_16x16x32_i8 v[72:75], a[88:89], a[16:17], v[72:75]// 000000003E28: D3D70048 1D222158
	v_mfma_i32_16x16x32_i8 v[72:75], a[90:91], a[18:19], v[72:75]// 000000003E30: D3D70048 1D22255A
	buffer_load_dword v46, s[20:23], 0 offen lds               // 000000003E38: E0511000 8005002E
	s_add_u32 m0, 0x500, s48                                   // 000000003E40: 807C30FF 00000500
	v_mfma_i32_16x16x32_i8 v[72:75], a[92:93], a[20:21], v[72:75]// 000000003E48: D3D70048 1D22295C
	v_mfma_i32_16x16x32_i8 v[72:75], a[94:95], a[22:23], v[72:75]// 000000003E50: D3D70048 1D222D5E
	buffer_load_dword v47, s[20:23], 0 offen lds               // 000000003E58: E0511000 8005002F
	s_add_u32 m0, 0, s49                                       // 000000003E60: 807C3180
	s_waitcnt vmcnt(10)                                        // 000000003E64: BF8C0F7A
	s_barrier                                                  // 000000003E68: BF8A0000
	v_mfma_i32_16x16x32_i8 v[76:79], a[48:49], a[0:1], v[76:79]// 000000003E6C: D3D7004C 1D320130
	v_mfma_i32_16x16x32_i8 v[76:79], a[50:51], a[2:3], v[76:79]// 000000003E74: D3D7004C 1D320532
	buffer_load_dwordx4 a[80:83], v48, s[84:87], 0 offen       // 000000003E7C: E05C1000 80955030
	v_mfma_i32_16x16x32_i8 v[76:79], a[52:53], a[4:5], v[76:79]// 000000003E84: D3D7004C 1D320934
	v_mfma_i32_16x16x32_i8 v[76:79], a[54:55], a[6:7], v[76:79]// 000000003E8C: D3D7004C 1D320D36
	ds_read_b128 a[24:27], v2 offset:12544                     // 000000003E94: DBFE3100 18000002
	ds_read_b128 a[28:31], v2 offset:12608                     // 000000003E9C: DBFE3140 1C000002
	v_mfma_i32_16x16x32_i8 v[88:91], a[56:57], a[0:1], v[88:91]// 000000003EA4: D3D70058 1D620138
	v_mfma_i32_16x16x32_i8 v[88:91], a[58:59], a[2:3], v[88:91]// 000000003EAC: D3D70058 1D62053A
	buffer_load_dwordx4 a[84:87], v48, s[84:87], 0 offen offset:1024// 000000003EB4: E05C1400 80955430
	v_mfma_i32_16x16x32_i8 v[88:91], a[60:61], a[4:5], v[88:91]// 000000003EBC: D3D70058 1D62093C
	v_mfma_i32_16x16x32_i8 v[88:91], a[62:63], a[6:7], v[88:91]// 000000003EC4: D3D70058 1D620D3E
	ds_read_b128 a[32:35], v2 offset:13056                     // 000000003ECC: DBFE3300 20000002
	ds_read_b128 a[36:39], v2 offset:13120                     // 000000003ED4: DBFE3340 24000002
	v_mfma_i32_16x16x32_i8 v[80:83], a[48:49], a[8:9], v[80:83]// 000000003EDC: D3D70050 1D421130
	v_mfma_i32_16x16x32_i8 v[80:83], a[50:51], a[10:11], v[80:83]// 000000003EE4: D3D70050 1D421532
	buffer_load_dwordx4 a[88:91], v49, s[84:87], 0 offen       // 000000003EEC: E05C1000 80955831
	v_mfma_i32_16x16x32_i8 v[80:83], a[52:53], a[12:13], v[80:83]// 000000003EF4: D3D70050 1D421934
	v_mfma_i32_16x16x32_i8 v[80:83], a[54:55], a[14:15], v[80:83]// 000000003EFC: D3D70050 1D421D36
	ds_read_b128 a[40:43], v2 offset:13568                     // 000000003F04: DBFE3500 28000002
	ds_read_b128 a[44:47], v2 offset:13632                     // 000000003F0C: DBFE3540 2C000002
	v_mfma_i32_16x16x32_i8 v[92:95], a[56:57], a[8:9], v[92:95]// 000000003F14: D3D7005C 1D721138
	v_mfma_i32_16x16x32_i8 v[92:95], a[58:59], a[10:11], v[92:95]// 000000003F1C: D3D7005C 1D72153A
	buffer_load_dwordx4 a[92:95], v49, s[84:87], 0 offen offset:1024// 000000003F24: E05C1400 80955C31
	v_mfma_i32_16x16x32_i8 v[92:95], a[60:61], a[12:13], v[92:95]// 000000003F2C: D3D7005C 1D72193C
	v_mfma_i32_16x16x32_i8 v[92:95], a[62:63], a[14:15], v[92:95]// 000000003F34: D3D7005C 1D721D3E
	v_mfma_i32_16x16x32_i8 v[84:87], a[48:49], a[16:17], v[84:87]// 000000003F3C: D3D70054 1D522130
	s_add_u32 s60, 0x180, s80                                  // 000000003F44: 803C50FF 00000180
	s_cmp_lt_u32 s60, s81                                      // 000000003F4C: BF0A513C
	s_cselect_b32 s57, s57, 0                                  // 000000003F50: 85398039
	v_mfma_i32_16x16x32_i8 v[84:87], a[50:51], a[18:19], v[84:87]// 000000003F54: D3D70054 1D522532
	s_add_u32 s60, 0x100, s80                                  // 000000003F5C: 803C50FF 00000100
	s_cmp_lt_u32 s60, s81                                      // 000000003F64: BF0A513C
	s_cselect_b32 s58, s58, 0                                  // 000000003F68: 853A803A
	v_mfma_i32_16x16x32_i8 v[84:87], a[52:53], a[20:21], v[84:87]// 000000003F6C: D3D70054 1D522934
	s_add_u32 s60, 0x100, s80                                  // 000000003F74: 803C50FF 00000100
	s_cmp_lt_u32 s60, s81                                      // 000000003F7C: BF0A513C
	s_cselect_b32 s83, s83, 0                                  // 000000003F80: 85538053
	v_mfma_i32_16x16x32_i8 v[84:87], a[54:55], a[22:23], v[84:87]// 000000003F84: D3D70054 1D522D36
	s_add_u32 s24, s58, s24                                    // 000000003F8C: 8018183A
	s_addc_u32 s25, 0, s25                                     // 000000003F90: 82191980
	v_mfma_i32_16x16x32_i8 v[96:99], a[56:57], a[16:17], v[96:99]// 000000003F94: D3D70060 1D822138
	s_add_u32 s20, s57, s20                                    // 000000003F9C: 80141439
	s_addc_u32 s21, 0, s21                                     // 000000003FA0: 82151580
	v_mfma_i32_16x16x32_i8 v[96:99], a[58:59], a[18:19], v[96:99]// 000000003FA4: D3D70060 1D82253A
	s_add_u32 s84, s83, s84                                    // 000000003FAC: 80545453
	s_addc_u32 s85, 0, s85                                     // 000000003FB0: 82555580
	v_mfma_i32_16x16x32_i8 v[96:99], a[60:61], a[20:21], v[96:99]// 000000003FB4: D3D70060 1D82293C
	v_mfma_i32_16x16x32_i8 v[96:99], a[62:63], a[22:23], v[96:99]// 000000003FBC: D3D70060 1D822D3E
	s_addk_i32 s80, 0x80                                       // 000000003FC4: B7500080
	s_cmp_lt_i32 s80, s81                                      // 000000003FC8: BF045150
	s_cbranch_scc0 label_0620                                  // 000000003FCC: BF8400AC
	s_waitcnt vmcnt(10) lgkmcnt(0)                             // 000000003FD0: BF8C007A
	v_mfma_i32_16x16x32_i8 v[52:55], a[64:65], a[24:25], v[52:55]// 000000003FD4: D3D70034 1CD23140
	v_mfma_i32_16x16x32_i8 v[52:55], a[66:67], a[26:27], v[52:55]// 000000003FDC: D3D70034 1CD23542
	buffer_load_dwordx4 a[48:51], v48, s[24:27], 0 offen       // 000000003FE4: E05C1000 80863030
	v_mfma_i32_16x16x32_i8 v[52:55], a[68:69], a[28:29], v[52:55]// 000000003FEC: D3D70034 1CD23944
	v_mfma_i32_16x16x32_i8 v[52:55], a[70:71], a[30:31], v[52:55]// 000000003FF4: D3D70034 1CD23D46
	v_mfma_i32_16x16x32_i8 v[64:67], a[72:73], a[24:25], v[64:67]// 000000003FFC: D3D70040 1D023148
	v_mfma_i32_16x16x32_i8 v[64:67], a[74:75], a[26:27], v[64:67]// 000000004004: D3D70040 1D02354A
	buffer_load_dwordx4 a[52:55], v48, s[24:27], 0 offen offset:1024// 00000000400C: E05C1400 80863430
	v_mfma_i32_16x16x32_i8 v[64:67], a[76:77], a[28:29], v[64:67]// 000000004014: D3D70040 1D02394C
	v_mfma_i32_16x16x32_i8 v[64:67], a[78:79], a[30:31], v[64:67]// 00000000401C: D3D70040 1D023D4E
	v_mfma_i32_16x16x32_i8 v[56:59], a[64:65], a[32:33], v[56:59]// 000000004024: D3D70038 1CE24140
	v_mfma_i32_16x16x32_i8 v[56:59], a[66:67], a[34:35], v[56:59]// 00000000402C: D3D70038 1CE24542
	buffer_load_dwordx4 a[56:59], v49, s[24:27], 0 offen       // 000000004034: E05C1000 80863831
	v_mfma_i32_16x16x32_i8 v[56:59], a[68:69], a[36:37], v[56:59]// 00000000403C: D3D70038 1CE24944
	v_mfma_i32_16x16x32_i8 v[56:59], a[70:71], a[38:39], v[56:59]// 000000004044: D3D70038 1CE24D46
	v_mfma_i32_16x16x32_i8 v[68:71], a[72:73], a[32:33], v[68:71]// 00000000404C: D3D70044 1D124148
	v_mfma_i32_16x16x32_i8 v[68:71], a[74:75], a[34:35], v[68:71]// 000000004054: D3D70044 1D12454A
	buffer_load_dwordx4 a[60:63], v49, s[24:27], 0 offen offset:1024// 00000000405C: E05C1400 80863C31
	buffer_load_dword v42, s[20:23], 0 offen lds               // 000000004064: E0511000 8005002A
	s_add_u32 m0, 0x100, s49                                   // 00000000406C: 807C31FF 00000100
	v_mfma_i32_16x16x32_i8 v[68:71], a[76:77], a[36:37], v[68:71]// 000000004074: D3D70044 1D12494C
	v_mfma_i32_16x16x32_i8 v[68:71], a[78:79], a[38:39], v[68:71]// 00000000407C: D3D70044 1D124D4E
	buffer_load_dword v43, s[20:23], 0 offen lds               // 000000004084: E0511000 8005002B
	s_add_u32 m0, 0x200, s49                                   // 00000000408C: 807C31FF 00000200
	v_mfma_i32_16x16x32_i8 v[60:63], a[64:65], a[40:41], v[60:63]// 000000004094: D3D7003C 1CF25140
	v_mfma_i32_16x16x32_i8 v[60:63], a[66:67], a[42:43], v[60:63]// 00000000409C: D3D7003C 1CF25542
	buffer_load_dword v44, s[20:23], 0 offen lds               // 0000000040A4: E0511000 8005002C
	s_add_u32 m0, 0x300, s49                                   // 0000000040AC: 807C31FF 00000300
	v_mfma_i32_16x16x32_i8 v[60:63], a[68:69], a[44:45], v[60:63]// 0000000040B4: D3D7003C 1CF25944
	v_mfma_i32_16x16x32_i8 v[60:63], a[70:71], a[46:47], v[60:63]// 0000000040BC: D3D7003C 1CF25D46
	buffer_load_dword v45, s[20:23], 0 offen lds               // 0000000040C4: E0511000 8005002D
	s_add_u32 m0, 0x400, s49                                   // 0000000040CC: 807C31FF 00000400
	v_mfma_i32_16x16x32_i8 v[72:75], a[72:73], a[40:41], v[72:75]// 0000000040D4: D3D70048 1D225148
	v_mfma_i32_16x16x32_i8 v[72:75], a[74:75], a[42:43], v[72:75]// 0000000040DC: D3D70048 1D22554A
	buffer_load_dword v46, s[20:23], 0 offen lds               // 0000000040E4: E0511000 8005002E
	s_add_u32 m0, 0x500, s49                                   // 0000000040EC: 807C31FF 00000500
	v_mfma_i32_16x16x32_i8 v[72:75], a[76:77], a[44:45], v[72:75]// 0000000040F4: D3D70048 1D22594C
	v_mfma_i32_16x16x32_i8 v[72:75], a[78:79], a[46:47], v[72:75]// 0000000040FC: D3D70048 1D225D4E
	buffer_load_dword v47, s[20:23], 0 offen lds               // 000000004104: E0511000 8005002F
	s_add_u32 m0, 0, s50                                       // 00000000410C: 807C3280
	s_waitcnt vmcnt(10)                                        // 000000004110: BF8C0F7A
	s_barrier                                                  // 000000004114: BF8A0000
	v_mfma_i32_16x16x32_i8 v[76:79], a[80:81], a[24:25], v[76:79]// 000000004118: D3D7004C 1D323150
	v_mfma_i32_16x16x32_i8 v[76:79], a[82:83], a[26:27], v[76:79]// 000000004120: D3D7004C 1D323552
	buffer_load_dwordx4 a[64:67], v48, s[84:87], 0 offen       // 000000004128: E05C1000 80954030
	v_mfma_i32_16x16x32_i8 v[76:79], a[84:85], a[28:29], v[76:79]// 000000004130: D3D7004C 1D323954
	v_mfma_i32_16x16x32_i8 v[76:79], a[86:87], a[30:31], v[76:79]// 000000004138: D3D7004C 1D323D56
	ds_read_b128 a[0:3], v2                                    // 000000004140: DBFE0000 00000002
	ds_read_b128 a[4:7], v2 offset:64                          // 000000004148: DBFE0040 04000002
	v_mfma_i32_16x16x32_i8 v[88:91], a[88:89], a[24:25], v[88:91]// 000000004150: D3D70058 1D623158
	v_mfma_i32_16x16x32_i8 v[88:91], a[90:91], a[26:27], v[88:91]// 000000004158: D3D70058 1D62355A
	buffer_load_dwordx4 a[68:71], v48, s[84:87], 0 offen offset:1024// 000000004160: E05C1400 80954430
	v_mfma_i32_16x16x32_i8 v[88:91], a[92:93], a[28:29], v[88:91]// 000000004168: D3D70058 1D62395C
	v_mfma_i32_16x16x32_i8 v[88:91], a[94:95], a[30:31], v[88:91]// 000000004170: D3D70058 1D623D5E
	ds_read_b128 a[8:11], v2 offset:512                        // 000000004178: DBFE0200 08000002
	ds_read_b128 a[12:15], v2 offset:576                       // 000000004180: DBFE0240 0C000002
	v_mfma_i32_16x16x32_i8 v[80:83], a[80:81], a[32:33], v[80:83]// 000000004188: D3D70050 1D424150
	v_mfma_i32_16x16x32_i8 v[80:83], a[82:83], a[34:35], v[80:83]// 000000004190: D3D70050 1D424552
	buffer_load_dwordx4 a[72:75], v49, s[84:87], 0 offen       // 000000004198: E05C1000 80954831
	v_mfma_i32_16x16x32_i8 v[80:83], a[84:85], a[36:37], v[80:83]// 0000000041A0: D3D70050 1D424954
	v_mfma_i32_16x16x32_i8 v[80:83], a[86:87], a[38:39], v[80:83]// 0000000041A8: D3D70050 1D424D56
	ds_read_b128 a[16:19], v2 offset:1024                      // 0000000041B0: DBFE0400 10000002
	ds_read_b128 a[20:23], v2 offset:1088                      // 0000000041B8: DBFE0440 14000002
	v_mfma_i32_16x16x32_i8 v[92:95], a[88:89], a[32:33], v[92:95]// 0000000041C0: D3D7005C 1D724158
	v_mfma_i32_16x16x32_i8 v[92:95], a[90:91], a[34:35], v[92:95]// 0000000041C8: D3D7005C 1D72455A
	buffer_load_dwordx4 a[76:79], v49, s[84:87], 0 offen offset:1024// 0000000041D0: E05C1400 80954C31
	v_mfma_i32_16x16x32_i8 v[92:95], a[92:93], a[36:37], v[92:95]// 0000000041D8: D3D7005C 1D72495C
	v_mfma_i32_16x16x32_i8 v[92:95], a[94:95], a[38:39], v[92:95]// 0000000041E0: D3D7005C 1D724D5E
	v_mfma_i32_16x16x32_i8 v[84:87], a[80:81], a[40:41], v[84:87]// 0000000041E8: D3D70054 1D525150
	s_add_u32 s60, 0x180, s80                                  // 0000000041F0: 803C50FF 00000180
	s_cmp_lt_u32 s60, s81                                      // 0000000041F8: BF0A513C
	s_cselect_b32 s57, s57, 0                                  // 0000000041FC: 85398039
	v_mfma_i32_16x16x32_i8 v[84:87], a[82:83], a[42:43], v[84:87]// 000000004200: D3D70054 1D525552
	s_add_u32 s60, 0x100, s80                                  // 000000004208: 803C50FF 00000100
	s_cmp_lt_u32 s60, s81                                      // 000000004210: BF0A513C
	s_cselect_b32 s58, s58, 0                                  // 000000004214: 853A803A
	v_mfma_i32_16x16x32_i8 v[84:87], a[84:85], a[44:45], v[84:87]// 000000004218: D3D70054 1D525954
	s_add_u32 s60, 0x100, s80                                  // 000000004220: 803C50FF 00000100
	s_cmp_lt_u32 s60, s81                                      // 000000004228: BF0A513C
	s_cselect_b32 s83, s83, 0                                  // 00000000422C: 85538053
	v_mfma_i32_16x16x32_i8 v[84:87], a[86:87], a[46:47], v[84:87]// 000000004230: D3D70054 1D525D56
	s_add_u32 s24, s58, s24                                    // 000000004238: 8018183A
	s_addc_u32 s25, 0, s25                                     // 00000000423C: 82191980
	v_mfma_i32_16x16x32_i8 v[96:99], a[88:89], a[40:41], v[96:99]// 000000004240: D3D70060 1D825158
	s_add_u32 s20, s57, s20                                    // 000000004248: 80141439
	s_addc_u32 s21, 0, s21                                     // 00000000424C: 82151580
	v_mfma_i32_16x16x32_i8 v[96:99], a[90:91], a[42:43], v[96:99]// 000000004250: D3D70060 1D82555A
	s_add_u32 s84, s83, s84                                    // 000000004258: 80545453
	s_addc_u32 s85, 0, s85                                     // 00000000425C: 82555580
	v_mfma_i32_16x16x32_i8 v[96:99], a[92:93], a[44:45], v[96:99]// 000000004260: D3D70060 1D82595C
	v_mfma_i32_16x16x32_i8 v[96:99], a[94:95], a[46:47], v[96:99]// 000000004268: D3D70060 1D825D5E
	s_addk_i32 s80, 0x80                                       // 000000004270: B7500080
	s_cmp_lt_i32 s80, s81                                      // 000000004274: BF045150
	s_cbranch_scc0 label_0620                                  // 000000004278: BF840001
	s_branch label_021D                                        // 00000000427C: BF82FBFD

0000000000004280 <label_0620>:
	v_cvt_f32_i32_e32 v52, v52                                 // 000000004280: 7E680B34
	v_cvt_f32_i32_e32 v53, v53                                 // 000000004284: 7E6A0B35
	v_cvt_f32_i32_e32 v54, v54                                 // 000000004288: 7E6C0B36
	v_cvt_f32_i32_e32 v55, v55                                 // 00000000428C: 7E6E0B37
	v_mul_f32_dpp v52, v24, v52 row_newbcast:0 row_mask:0xf bank_mask:0xf// 000000004290: 0A6868FA FF015018
	v_mul_f32_dpp v53, v24, v53 row_newbcast:1 row_mask:0xf bank_mask:0xf// 000000004298: 0A6A6AFA FF015118
	v_mul_f32_dpp v54, v24, v54 row_newbcast:2 row_mask:0xf bank_mask:0xf// 0000000042A0: 0A6C6CFA FF015218
	v_mul_f32_dpp v55, v24, v55 row_newbcast:3 row_mask:0xf bank_mask:0xf// 0000000042A8: 0A6E6EFA FF015318
	v_cvt_f32_i32_e32 v56, v56                                 // 0000000042B0: 7E700B38
	v_cvt_f32_i32_e32 v57, v57                                 // 0000000042B4: 7E720B39
	v_cvt_f32_i32_e32 v58, v58                                 // 0000000042B8: 7E740B3A
	v_cvt_f32_i32_e32 v59, v59                                 // 0000000042BC: 7E760B3B
	v_mul_f32_dpp v56, v24, v56 row_newbcast:0 row_mask:0xf bank_mask:0xf// 0000000042C0: 0A7070FA FF015018
	v_mul_f32_dpp v57, v24, v57 row_newbcast:1 row_mask:0xf bank_mask:0xf// 0000000042C8: 0A7272FA FF015118
	v_mul_f32_dpp v58, v24, v58 row_newbcast:2 row_mask:0xf bank_mask:0xf// 0000000042D0: 0A7474FA FF015218
	v_mul_f32_dpp v59, v24, v59 row_newbcast:3 row_mask:0xf bank_mask:0xf// 0000000042D8: 0A7676FA FF015318
	v_cvt_f32_i32_e32 v60, v60                                 // 0000000042E0: 7E780B3C
	v_cvt_f32_i32_e32 v61, v61                                 // 0000000042E4: 7E7A0B3D
	v_cvt_f32_i32_e32 v62, v62                                 // 0000000042E8: 7E7C0B3E
	v_cvt_f32_i32_e32 v63, v63                                 // 0000000042EC: 7E7E0B3F
	v_mul_f32_dpp v60, v24, v60 row_newbcast:0 row_mask:0xf bank_mask:0xf// 0000000042F0: 0A7878FA FF015018
	v_mul_f32_dpp v61, v24, v61 row_newbcast:1 row_mask:0xf bank_mask:0xf// 0000000042F8: 0A7A7AFA FF015118
	v_mul_f32_dpp v62, v24, v62 row_newbcast:2 row_mask:0xf bank_mask:0xf// 000000004300: 0A7C7CFA FF015218
	v_mul_f32_dpp v63, v24, v63 row_newbcast:3 row_mask:0xf bank_mask:0xf// 000000004308: 0A7E7EFA FF015318
	v_cvt_f32_i32_e32 v64, v64                                 // 000000004310: 7E800B40
	v_cvt_f32_i32_e32 v65, v65                                 // 000000004314: 7E820B41
	v_cvt_f32_i32_e32 v66, v66                                 // 000000004318: 7E840B42
	v_cvt_f32_i32_e32 v67, v67                                 // 00000000431C: 7E860B43
	v_mul_f32_dpp v64, v24, v64 row_newbcast:4 row_mask:0xf bank_mask:0xf// 000000004320: 0A8080FA FF015418
	v_mul_f32_dpp v65, v24, v65 row_newbcast:5 row_mask:0xf bank_mask:0xf// 000000004328: 0A8282FA FF015518
	v_mul_f32_dpp v66, v24, v66 row_newbcast:6 row_mask:0xf bank_mask:0xf// 000000004330: 0A8484FA FF015618
	v_mul_f32_dpp v67, v24, v67 row_newbcast:7 row_mask:0xf bank_mask:0xf// 000000004338: 0A8686FA FF015718
	v_cvt_f32_i32_e32 v68, v68                                 // 000000004340: 7E880B44
	v_cvt_f32_i32_e32 v69, v69                                 // 000000004344: 7E8A0B45
	v_cvt_f32_i32_e32 v70, v70                                 // 000000004348: 7E8C0B46
	v_cvt_f32_i32_e32 v71, v71                                 // 00000000434C: 7E8E0B47
	v_mul_f32_dpp v68, v24, v68 row_newbcast:4 row_mask:0xf bank_mask:0xf// 000000004350: 0A8888FA FF015418
	v_mul_f32_dpp v69, v24, v69 row_newbcast:5 row_mask:0xf bank_mask:0xf// 000000004358: 0A8A8AFA FF015518
	v_mul_f32_dpp v70, v24, v70 row_newbcast:6 row_mask:0xf bank_mask:0xf// 000000004360: 0A8C8CFA FF015618
	v_mul_f32_dpp v71, v24, v71 row_newbcast:7 row_mask:0xf bank_mask:0xf// 000000004368: 0A8E8EFA FF015718
	v_cvt_f32_i32_e32 v72, v72                                 // 000000004370: 7E900B48
	v_cvt_f32_i32_e32 v73, v73                                 // 000000004374: 7E920B49
	v_cvt_f32_i32_e32 v74, v74                                 // 000000004378: 7E940B4A
	v_cvt_f32_i32_e32 v75, v75                                 // 00000000437C: 7E960B4B
	v_mul_f32_dpp v72, v24, v72 row_newbcast:4 row_mask:0xf bank_mask:0xf// 000000004380: 0A9090FA FF015418
	v_mul_f32_dpp v73, v24, v73 row_newbcast:5 row_mask:0xf bank_mask:0xf// 000000004388: 0A9292FA FF015518
	v_mul_f32_dpp v74, v24, v74 row_newbcast:6 row_mask:0xf bank_mask:0xf// 000000004390: 0A9494FA FF015618
	v_mul_f32_dpp v75, v24, v75 row_newbcast:7 row_mask:0xf bank_mask:0xf// 000000004398: 0A9696FA FF015718
	v_cvt_f32_i32_e32 v76, v76                                 // 0000000043A0: 7E980B4C
	v_cvt_f32_i32_e32 v77, v77                                 // 0000000043A4: 7E9A0B4D
	v_cvt_f32_i32_e32 v78, v78                                 // 0000000043A8: 7E9C0B4E
	v_cvt_f32_i32_e32 v79, v79                                 // 0000000043AC: 7E9E0B4F
	v_mul_f32_dpp v76, v27, v76 row_newbcast:0 row_mask:0xf bank_mask:0xf// 0000000043B0: 0A9898FA FF01501B
	v_mul_f32_dpp v77, v27, v77 row_newbcast:1 row_mask:0xf bank_mask:0xf// 0000000043B8: 0A9A9AFA FF01511B
	v_mul_f32_dpp v78, v27, v78 row_newbcast:2 row_mask:0xf bank_mask:0xf// 0000000043C0: 0A9C9CFA FF01521B
	v_mul_f32_dpp v79, v27, v79 row_newbcast:3 row_mask:0xf bank_mask:0xf// 0000000043C8: 0A9E9EFA FF01531B
	v_cvt_f32_i32_e32 v80, v80                                 // 0000000043D0: 7EA00B50
	v_cvt_f32_i32_e32 v81, v81                                 // 0000000043D4: 7EA20B51
	v_cvt_f32_i32_e32 v82, v82                                 // 0000000043D8: 7EA40B52
	v_cvt_f32_i32_e32 v83, v83                                 // 0000000043DC: 7EA60B53
	v_mul_f32_dpp v80, v27, v80 row_newbcast:0 row_mask:0xf bank_mask:0xf// 0000000043E0: 0AA0A0FA FF01501B
	v_mul_f32_dpp v81, v27, v81 row_newbcast:1 row_mask:0xf bank_mask:0xf// 0000000043E8: 0AA2A2FA FF01511B
	v_mul_f32_dpp v82, v27, v82 row_newbcast:2 row_mask:0xf bank_mask:0xf// 0000000043F0: 0AA4A4FA FF01521B
	v_mul_f32_dpp v83, v27, v83 row_newbcast:3 row_mask:0xf bank_mask:0xf// 0000000043F8: 0AA6A6FA FF01531B
	v_cvt_f32_i32_e32 v84, v84                                 // 000000004400: 7EA80B54
	v_cvt_f32_i32_e32 v85, v85                                 // 000000004404: 7EAA0B55
	v_cvt_f32_i32_e32 v86, v86                                 // 000000004408: 7EAC0B56
	v_cvt_f32_i32_e32 v87, v87                                 // 00000000440C: 7EAE0B57
	v_mul_f32_dpp v84, v27, v84 row_newbcast:0 row_mask:0xf bank_mask:0xf// 000000004410: 0AA8A8FA FF01501B
	v_mul_f32_dpp v85, v27, v85 row_newbcast:1 row_mask:0xf bank_mask:0xf// 000000004418: 0AAAAAFA FF01511B
	v_mul_f32_dpp v86, v27, v86 row_newbcast:2 row_mask:0xf bank_mask:0xf// 000000004420: 0AACACFA FF01521B
	v_mul_f32_dpp v87, v27, v87 row_newbcast:3 row_mask:0xf bank_mask:0xf// 000000004428: 0AAEAEFA FF01531B
	v_cvt_f32_i32_e32 v88, v88                                 // 000000004430: 7EB00B58
	v_cvt_f32_i32_e32 v89, v89                                 // 000000004434: 7EB20B59
	v_cvt_f32_i32_e32 v90, v90                                 // 000000004438: 7EB40B5A
	v_cvt_f32_i32_e32 v91, v91                                 // 00000000443C: 7EB60B5B
	v_mul_f32_dpp v88, v27, v88 row_newbcast:4 row_mask:0xf bank_mask:0xf// 000000004440: 0AB0B0FA FF01541B
	v_mul_f32_dpp v89, v27, v89 row_newbcast:5 row_mask:0xf bank_mask:0xf// 000000004448: 0AB2B2FA FF01551B
	v_mul_f32_dpp v90, v27, v90 row_newbcast:6 row_mask:0xf bank_mask:0xf// 000000004450: 0AB4B4FA FF01561B
	v_mul_f32_dpp v91, v27, v91 row_newbcast:7 row_mask:0xf bank_mask:0xf// 000000004458: 0AB6B6FA FF01571B
	v_cvt_f32_i32_e32 v92, v92                                 // 000000004460: 7EB80B5C
	v_cvt_f32_i32_e32 v93, v93                                 // 000000004464: 7EBA0B5D
	v_cvt_f32_i32_e32 v94, v94                                 // 000000004468: 7EBC0B5E
	v_cvt_f32_i32_e32 v95, v95                                 // 00000000446C: 7EBE0B5F
	v_mul_f32_dpp v92, v27, v92 row_newbcast:4 row_mask:0xf bank_mask:0xf// 000000004470: 0AB8B8FA FF01541B
	v_mul_f32_dpp v93, v27, v93 row_newbcast:5 row_mask:0xf bank_mask:0xf// 000000004478: 0ABABAFA FF01551B
	v_mul_f32_dpp v94, v27, v94 row_newbcast:6 row_mask:0xf bank_mask:0xf// 000000004480: 0ABCBCFA FF01561B
	v_mul_f32_dpp v95, v27, v95 row_newbcast:7 row_mask:0xf bank_mask:0xf// 000000004488: 0ABEBEFA FF01571B
	v_cvt_f32_i32_e32 v96, v96                                 // 000000004490: 7EC00B60
	v_cvt_f32_i32_e32 v97, v97                                 // 000000004494: 7EC20B61
	v_cvt_f32_i32_e32 v98, v98                                 // 000000004498: 7EC40B62
	v_cvt_f32_i32_e32 v99, v99                                 // 00000000449C: 7EC60B63
	v_mul_f32_dpp v96, v27, v96 row_newbcast:4 row_mask:0xf bank_mask:0xf// 0000000044A0: 0AC0C0FA FF01541B
	v_mul_f32_dpp v97, v27, v97 row_newbcast:5 row_mask:0xf bank_mask:0xf// 0000000044A8: 0AC2C2FA FF01551B
	v_mul_f32_dpp v98, v27, v98 row_newbcast:6 row_mask:0xf bank_mask:0xf// 0000000044B0: 0AC4C4FA FF01561B
	v_mul_f32_dpp v99, v27, v99 row_newbcast:7 row_mask:0xf bank_mask:0xf// 0000000044B8: 0AC6C6FA FF01571B
	v_mov_b32_e32 v4, v33                                      // 0000000044C0: 7E080321
	v_mov_b32_e32 v5, v4                                       // 0000000044C4: 7E0A0304
	v_pk_mul_f32 v[52:53], v[4:5], v[52:53]                    // 0000000044C8: D3B14034 18026904
	v_pk_mul_f32 v[76:77], v[4:5], v[76:77]                    // 0000000044D0: D3B1404C 18029904
	v_pk_mul_f32 v[54:55], v[4:5], v[54:55]                    // 0000000044D8: D3B14036 18026D04
	v_pk_mul_f32 v[78:79], v[4:5], v[78:79]                    // 0000000044E0: D3B1404E 18029D04
	v_pk_mul_f32 v[64:65], v[4:5], v[64:65]                    // 0000000044E8: D3B14040 18028104
	v_pk_mul_f32 v[88:89], v[4:5], v[88:89]                    // 0000000044F0: D3B14058 1802B104
	v_pk_mul_f32 v[66:67], v[4:5], v[66:67]                    // 0000000044F8: D3B14042 18028504
	v_pk_mul_f32 v[90:91], v[4:5], v[90:91]                    // 000000004500: D3B1405A 1802B504
	v_mov_b32_e32 v4, v34                                      // 000000004508: 7E080322
	v_mov_b32_e32 v5, v4                                       // 00000000450C: 7E0A0304
	v_pk_mul_f32 v[56:57], v[4:5], v[56:57]                    // 000000004510: D3B14038 18027104
	v_pk_mul_f32 v[80:81], v[4:5], v[80:81]                    // 000000004518: D3B14050 1802A104
	v_pk_mul_f32 v[58:59], v[4:5], v[58:59]                    // 000000004520: D3B1403A 18027504
	v_pk_mul_f32 v[82:83], v[4:5], v[82:83]                    // 000000004528: D3B14052 1802A504
	v_pk_mul_f32 v[68:69], v[4:5], v[68:69]                    // 000000004530: D3B14044 18028904
	v_pk_mul_f32 v[92:93], v[4:5], v[92:93]                    // 000000004538: D3B1405C 1802B904
	v_pk_mul_f32 v[70:71], v[4:5], v[70:71]                    // 000000004540: D3B14046 18028D04
	v_pk_mul_f32 v[94:95], v[4:5], v[94:95]                    // 000000004548: D3B1405E 1802BD04
	v_mov_b32_e32 v4, v35                                      // 000000004550: 7E080323
	v_mov_b32_e32 v5, v4                                       // 000000004554: 7E0A0304
	v_pk_mul_f32 v[60:61], v[4:5], v[60:61]                    // 000000004558: D3B1403C 18027904
	v_pk_mul_f32 v[84:85], v[4:5], v[84:85]                    // 000000004560: D3B14054 1802A904
	v_pk_mul_f32 v[62:63], v[4:5], v[62:63]                    // 000000004568: D3B1403E 18027D04
	v_pk_mul_f32 v[86:87], v[4:5], v[86:87]                    // 000000004570: D3B14056 1802AD04
	v_pk_mul_f32 v[72:73], v[4:5], v[72:73]                    // 000000004578: D3B14048 18029104
	v_pk_mul_f32 v[96:97], v[4:5], v[96:97]                    // 000000004580: D3B14060 1802C104
	v_pk_mul_f32 v[74:75], v[4:5], v[74:75]                    // 000000004588: D3B1404A 18029504
	v_pk_mul_f32 v[98:99], v[4:5], v[98:99]                    // 000000004590: D3B14062 1802C504
	s_cmp_eq_u32 s88, 0                                        // 000000004598: BF068058
	s_cbranch_scc0 label_0A81                                  // 00000000459C: BF840399
	s_cmp_eq_u32 s89, 0                                        // 0000000045A0: BF068059
	s_cbranch_scc1 label_07DF                                  // 0000000045A4: BF8500F5
	v_mov_b32_e32 v8, v1                                       // 0000000045A8: 7E100301
	v_mov_b32_e32 v9, v1                                       // 0000000045AC: 7E120301
	s_mov_b32 s60, s6                                          // 0000000045B0: BEBC0006
	s_mov_b32 s61, s6                                          // 0000000045B4: BEBD0006
	v_pk_mul_f32 v[4:5], v[52:53], v[52:53]                    // 0000000045B8: D3B14004 18026934
	v_pk_mul_f32 v[6:7], v[54:55], v[54:55]                    // 0000000045C0: D3B14006 18026D36
	v_pk_fma_f32 v[4:5], v[4:5], s[78:79], v[8:9]              // 0000000045C8: D3B04004 1C209D04
	v_pk_fma_f32 v[6:7], v[6:7], s[78:79], v[8:9]              // 0000000045D0: D3B04006 1C209D06
	v_pk_mul_f32 v[4:5], v[4:5], v[52:53]                      // 0000000045D8: D3B14004 18026904
	v_pk_mul_f32 v[6:7], v[6:7], v[54:55]                      // 0000000045E0: D3B14006 18026D06
	v_pk_mul_f32 v[4:5], v[4:5], s[60:61]                      // 0000000045E8: D3B14004 18007904
	v_pk_mul_f32 v[6:7], v[6:7], s[60:61]                      // 0000000045F0: D3B14006 18007906
	v_exp_f32_e32 v4, v4                                       // 0000000045F8: 7E084104
	v_exp_f32_e32 v5, v5                                       // 0000000045FC: 7E0A4105
	v_exp_f32_e32 v6, v6                                       // 000000004600: 7E0C4106
	v_exp_f32_e32 v7, v7                                       // 000000004604: 7E0E4107
	v_add_f32_e64 v4, v4, 1.0                                  // 000000004608: D1010004 0001E504
	v_add_f32_e64 v5, v5, 1.0                                  // 000000004610: D1010005 0001E505
	v_add_f32_e64 v6, v6, 1.0                                  // 000000004618: D1010006 0001E506
	v_add_f32_e64 v7, v7, 1.0                                  // 000000004620: D1010007 0001E507
	v_rcp_f32_e32 v4, v4                                       // 000000004628: 7E084504
	v_rcp_f32_e32 v5, v5                                       // 00000000462C: 7E0A4505
	v_rcp_f32_e32 v6, v6                                       // 000000004630: 7E0C4506
	v_rcp_f32_e32 v7, v7                                       // 000000004634: 7E0E4507
	v_mul_f32_e32 v52, v52, v4                                 // 000000004638: 0A680934
	v_mul_f32_e32 v53, v53, v5                                 // 00000000463C: 0A6A0B35
	v_mul_f32_e32 v54, v54, v6                                 // 000000004640: 0A6C0D36
	v_mul_f32_e32 v55, v55, v7                                 // 000000004644: 0A6E0F37
	v_mul_f32_e32 v52, v52, v76                                // 000000004648: 0A689934
	v_mul_f32_e32 v53, v53, v77                                // 00000000464C: 0A6A9B35
	v_mul_f32_e32 v54, v54, v78                                // 000000004650: 0A6C9D36
	v_mul_f32_e32 v55, v55, v79                                // 000000004654: 0A6E9F37
	v_pk_mul_f32 v[4:5], v[56:57], v[56:57]                    // 000000004658: D3B14004 18027138
	v_pk_mul_f32 v[6:7], v[58:59], v[58:59]                    // 000000004660: D3B14006 1802753A
	v_pk_fma_f32 v[4:5], v[4:5], s[78:79], v[8:9]              // 000000004668: D3B04004 1C209D04
	v_pk_fma_f32 v[6:7], v[6:7], s[78:79], v[8:9]              // 000000004670: D3B04006 1C209D06
	v_pk_mul_f32 v[4:5], v[4:5], v[56:57]                      // 000000004678: D3B14004 18027104
	v_pk_mul_f32 v[6:7], v[6:7], v[58:59]                      // 000000004680: D3B14006 18027506
	v_pk_mul_f32 v[4:5], v[4:5], s[60:61]                      // 000000004688: D3B14004 18007904
	v_pk_mul_f32 v[6:7], v[6:7], s[60:61]                      // 000000004690: D3B14006 18007906
	v_exp_f32_e32 v4, v4                                       // 000000004698: 7E084104
	v_exp_f32_e32 v5, v5                                       // 00000000469C: 7E0A4105
	v_exp_f32_e32 v6, v6                                       // 0000000046A0: 7E0C4106
	v_exp_f32_e32 v7, v7                                       // 0000000046A4: 7E0E4107
	v_add_f32_e64 v4, v4, 1.0                                  // 0000000046A8: D1010004 0001E504
	v_add_f32_e64 v5, v5, 1.0                                  // 0000000046B0: D1010005 0001E505
	v_add_f32_e64 v6, v6, 1.0                                  // 0000000046B8: D1010006 0001E506
	v_add_f32_e64 v7, v7, 1.0                                  // 0000000046C0: D1010007 0001E507
	v_rcp_f32_e32 v4, v4                                       // 0000000046C8: 7E084504
	v_rcp_f32_e32 v5, v5                                       // 0000000046CC: 7E0A4505
	v_rcp_f32_e32 v6, v6                                       // 0000000046D0: 7E0C4506
	v_rcp_f32_e32 v7, v7                                       // 0000000046D4: 7E0E4507
	v_mul_f32_e32 v56, v56, v4                                 // 0000000046D8: 0A700938
	v_mul_f32_e32 v57, v57, v5                                 // 0000000046DC: 0A720B39
	v_mul_f32_e32 v58, v58, v6                                 // 0000000046E0: 0A740D3A
	v_mul_f32_e32 v59, v59, v7                                 // 0000000046E4: 0A760F3B
	v_mul_f32_e32 v56, v56, v80                                // 0000000046E8: 0A70A138
	v_mul_f32_e32 v57, v57, v81                                // 0000000046EC: 0A72A339
	v_mul_f32_e32 v58, v58, v82                                // 0000000046F0: 0A74A53A
	v_mul_f32_e32 v59, v59, v83                                // 0000000046F4: 0A76A73B
	v_pk_mul_f32 v[4:5], v[60:61], v[60:61]                    // 0000000046F8: D3B14004 1802793C
	v_pk_mul_f32 v[6:7], v[62:63], v[62:63]                    // 000000004700: D3B14006 18027D3E
	v_pk_fma_f32 v[4:5], v[4:5], s[78:79], v[8:9]              // 000000004708: D3B04004 1C209D04
	v_pk_fma_f32 v[6:7], v[6:7], s[78:79], v[8:9]              // 000000004710: D3B04006 1C209D06
	v_pk_mul_f32 v[4:5], v[4:5], v[60:61]                      // 000000004718: D3B14004 18027904
	v_pk_mul_f32 v[6:7], v[6:7], v[62:63]                      // 000000004720: D3B14006 18027D06
	v_pk_mul_f32 v[4:5], v[4:5], s[60:61]                      // 000000004728: D3B14004 18007904
	v_pk_mul_f32 v[6:7], v[6:7], s[60:61]                      // 000000004730: D3B14006 18007906
	v_exp_f32_e32 v4, v4                                       // 000000004738: 7E084104
	v_exp_f32_e32 v5, v5                                       // 00000000473C: 7E0A4105
	v_exp_f32_e32 v6, v6                                       // 000000004740: 7E0C4106
	v_exp_f32_e32 v7, v7                                       // 000000004744: 7E0E4107
	v_add_f32_e64 v4, v4, 1.0                                  // 000000004748: D1010004 0001E504
	v_add_f32_e64 v5, v5, 1.0                                  // 000000004750: D1010005 0001E505
	v_add_f32_e64 v6, v6, 1.0                                  // 000000004758: D1010006 0001E506
	v_add_f32_e64 v7, v7, 1.0                                  // 000000004760: D1010007 0001E507
	v_rcp_f32_e32 v4, v4                                       // 000000004768: 7E084504
	v_rcp_f32_e32 v5, v5                                       // 00000000476C: 7E0A4505
	v_rcp_f32_e32 v6, v6                                       // 000000004770: 7E0C4506
	v_rcp_f32_e32 v7, v7                                       // 000000004774: 7E0E4507
	v_mul_f32_e32 v60, v60, v4                                 // 000000004778: 0A78093C
	v_mul_f32_e32 v61, v61, v5                                 // 00000000477C: 0A7A0B3D
	v_mul_f32_e32 v62, v62, v6                                 // 000000004780: 0A7C0D3E
	v_mul_f32_e32 v63, v63, v7                                 // 000000004784: 0A7E0F3F
	v_mul_f32_e32 v60, v60, v84                                // 000000004788: 0A78A93C
	v_mul_f32_e32 v61, v61, v85                                // 00000000478C: 0A7AAB3D
	v_mul_f32_e32 v62, v62, v86                                // 000000004790: 0A7CAD3E
	v_mul_f32_e32 v63, v63, v87                                // 000000004794: 0A7EAF3F
	v_pk_mul_f32 v[4:5], v[64:65], v[64:65]                    // 000000004798: D3B14004 18028140
	v_pk_mul_f32 v[6:7], v[66:67], v[66:67]                    // 0000000047A0: D3B14006 18028542
	v_pk_fma_f32 v[4:5], v[4:5], s[78:79], v[8:9]              // 0000000047A8: D3B04004 1C209D04
	v_pk_fma_f32 v[6:7], v[6:7], s[78:79], v[8:9]              // 0000000047B0: D3B04006 1C209D06
	v_pk_mul_f32 v[4:5], v[4:5], v[64:65]                      // 0000000047B8: D3B14004 18028104
	v_pk_mul_f32 v[6:7], v[6:7], v[66:67]                      // 0000000047C0: D3B14006 18028506
	v_pk_mul_f32 v[4:5], v[4:5], s[60:61]                      // 0000000047C8: D3B14004 18007904
	v_pk_mul_f32 v[6:7], v[6:7], s[60:61]                      // 0000000047D0: D3B14006 18007906
	v_exp_f32_e32 v4, v4                                       // 0000000047D8: 7E084104
	v_exp_f32_e32 v5, v5                                       // 0000000047DC: 7E0A4105
	v_exp_f32_e32 v6, v6                                       // 0000000047E0: 7E0C4106
	v_exp_f32_e32 v7, v7                                       // 0000000047E4: 7E0E4107
	v_add_f32_e64 v4, v4, 1.0                                  // 0000000047E8: D1010004 0001E504
	v_add_f32_e64 v5, v5, 1.0                                  // 0000000047F0: D1010005 0001E505
	v_add_f32_e64 v6, v6, 1.0                                  // 0000000047F8: D1010006 0001E506
	v_add_f32_e64 v7, v7, 1.0                                  // 000000004800: D1010007 0001E507
	v_rcp_f32_e32 v4, v4                                       // 000000004808: 7E084504
	v_rcp_f32_e32 v5, v5                                       // 00000000480C: 7E0A4505
	v_rcp_f32_e32 v6, v6                                       // 000000004810: 7E0C4506
	v_rcp_f32_e32 v7, v7                                       // 000000004814: 7E0E4507
	v_mul_f32_e32 v64, v64, v4                                 // 000000004818: 0A800940
	v_mul_f32_e32 v65, v65, v5                                 // 00000000481C: 0A820B41
	v_mul_f32_e32 v66, v66, v6                                 // 000000004820: 0A840D42
	v_mul_f32_e32 v67, v67, v7                                 // 000000004824: 0A860F43
	v_mul_f32_e32 v64, v64, v88                                // 000000004828: 0A80B140
	v_mul_f32_e32 v65, v65, v89                                // 00000000482C: 0A82B341
	v_mul_f32_e32 v66, v66, v90                                // 000000004830: 0A84B542
	v_mul_f32_e32 v67, v67, v91                                // 000000004834: 0A86B743
	v_pk_mul_f32 v[4:5], v[68:69], v[68:69]                    // 000000004838: D3B14004 18028944
	v_pk_mul_f32 v[6:7], v[70:71], v[70:71]                    // 000000004840: D3B14006 18028D46
	v_pk_fma_f32 v[4:5], v[4:5], s[78:79], v[8:9]              // 000000004848: D3B04004 1C209D04
	v_pk_fma_f32 v[6:7], v[6:7], s[78:79], v[8:9]              // 000000004850: D3B04006 1C209D06
	v_pk_mul_f32 v[4:5], v[4:5], v[68:69]                      // 000000004858: D3B14004 18028904
	v_pk_mul_f32 v[6:7], v[6:7], v[70:71]                      // 000000004860: D3B14006 18028D06
	v_pk_mul_f32 v[4:5], v[4:5], s[60:61]                      // 000000004868: D3B14004 18007904
	v_pk_mul_f32 v[6:7], v[6:7], s[60:61]                      // 000000004870: D3B14006 18007906
	v_exp_f32_e32 v4, v4                                       // 000000004878: 7E084104
	v_exp_f32_e32 v5, v5                                       // 00000000487C: 7E0A4105
	v_exp_f32_e32 v6, v6                                       // 000000004880: 7E0C4106
	v_exp_f32_e32 v7, v7                                       // 000000004884: 7E0E4107
	v_add_f32_e64 v4, v4, 1.0                                  // 000000004888: D1010004 0001E504
	v_add_f32_e64 v5, v5, 1.0                                  // 000000004890: D1010005 0001E505
	v_add_f32_e64 v6, v6, 1.0                                  // 000000004898: D1010006 0001E506
	v_add_f32_e64 v7, v7, 1.0                                  // 0000000048A0: D1010007 0001E507
	v_rcp_f32_e32 v4, v4                                       // 0000000048A8: 7E084504
	v_rcp_f32_e32 v5, v5                                       // 0000000048AC: 7E0A4505
	v_rcp_f32_e32 v6, v6                                       // 0000000048B0: 7E0C4506
	v_rcp_f32_e32 v7, v7                                       // 0000000048B4: 7E0E4507
	v_mul_f32_e32 v68, v68, v4                                 // 0000000048B8: 0A880944
	v_mul_f32_e32 v69, v69, v5                                 // 0000000048BC: 0A8A0B45
	v_mul_f32_e32 v70, v70, v6                                 // 0000000048C0: 0A8C0D46
	v_mul_f32_e32 v71, v71, v7                                 // 0000000048C4: 0A8E0F47
	v_mul_f32_e32 v68, v68, v92                                // 0000000048C8: 0A88B944
	v_mul_f32_e32 v69, v69, v93                                // 0000000048CC: 0A8ABB45
	v_mul_f32_e32 v70, v70, v94                                // 0000000048D0: 0A8CBD46
	v_mul_f32_e32 v71, v71, v95                                // 0000000048D4: 0A8EBF47
	v_pk_mul_f32 v[4:5], v[72:73], v[72:73]                    // 0000000048D8: D3B14004 18029148
	v_pk_mul_f32 v[6:7], v[74:75], v[74:75]                    // 0000000048E0: D3B14006 1802954A
	v_pk_fma_f32 v[4:5], v[4:5], s[78:79], v[8:9]              // 0000000048E8: D3B04004 1C209D04
	v_pk_fma_f32 v[6:7], v[6:7], s[78:79], v[8:9]              // 0000000048F0: D3B04006 1C209D06
	v_pk_mul_f32 v[4:5], v[4:5], v[72:73]                      // 0000000048F8: D3B14004 18029104
	v_pk_mul_f32 v[6:7], v[6:7], v[74:75]                      // 000000004900: D3B14006 18029506
	v_pk_mul_f32 v[4:5], v[4:5], s[60:61]                      // 000000004908: D3B14004 18007904
	v_pk_mul_f32 v[6:7], v[6:7], s[60:61]                      // 000000004910: D3B14006 18007906
	v_exp_f32_e32 v4, v4                                       // 000000004918: 7E084104
	v_exp_f32_e32 v5, v5                                       // 00000000491C: 7E0A4105
	v_exp_f32_e32 v6, v6                                       // 000000004920: 7E0C4106
	v_exp_f32_e32 v7, v7                                       // 000000004924: 7E0E4107
	v_add_f32_e64 v4, v4, 1.0                                  // 000000004928: D1010004 0001E504
	v_add_f32_e64 v5, v5, 1.0                                  // 000000004930: D1010005 0001E505
	v_add_f32_e64 v6, v6, 1.0                                  // 000000004938: D1010006 0001E506
	v_add_f32_e64 v7, v7, 1.0                                  // 000000004940: D1010007 0001E507
	v_rcp_f32_e32 v4, v4                                       // 000000004948: 7E084504
	v_rcp_f32_e32 v5, v5                                       // 00000000494C: 7E0A4505
	v_rcp_f32_e32 v6, v6                                       // 000000004950: 7E0C4506
	v_rcp_f32_e32 v7, v7                                       // 000000004954: 7E0E4507
	v_mul_f32_e32 v72, v72, v4                                 // 000000004958: 0A900948
	v_mul_f32_e32 v73, v73, v5                                 // 00000000495C: 0A920B49
	v_mul_f32_e32 v74, v74, v6                                 // 000000004960: 0A940D4A
	v_mul_f32_e32 v75, v75, v7                                 // 000000004964: 0A960F4B
	v_mul_f32_e32 v72, v72, v96                                // 000000004968: 0A90C148
	v_mul_f32_e32 v73, v73, v97                                // 00000000496C: 0A92C349
	v_mul_f32_e32 v74, v74, v98                                // 000000004970: 0A94C54A
	v_mul_f32_e32 v75, v75, v99                                // 000000004974: 0A96C74B
	s_branch label_089F                                        // 000000004978: BF8200C0

000000000000497c <label_07DF>:
	v_mul_f32_e64 v4, -v52, s6                                 // 00000000497C: D1050004 20000D34
	v_mul_f32_e64 v5, -v53, s6                                 // 000000004984: D1050005 20000D35
	v_mul_f32_e64 v6, -v54, s6                                 // 00000000498C: D1050006 20000D36
	v_mul_f32_e64 v7, -v55, s6                                 // 000000004994: D1050007 20000D37
	v_exp_f32_e32 v4, v4                                       // 00000000499C: 7E084104
	v_exp_f32_e32 v5, v5                                       // 0000000049A0: 7E0A4105
	v_exp_f32_e32 v6, v6                                       // 0000000049A4: 7E0C4106
	v_exp_f32_e32 v7, v7                                       // 0000000049A8: 7E0E4107
	v_add_f32_e64 v4, v4, 1.0                                  // 0000000049AC: D1010004 0001E504
	v_add_f32_e64 v5, v5, 1.0                                  // 0000000049B4: D1010005 0001E505
	v_add_f32_e64 v6, v6, 1.0                                  // 0000000049BC: D1010006 0001E506
	v_add_f32_e64 v7, v7, 1.0                                  // 0000000049C4: D1010007 0001E507
	v_rcp_f32_e32 v4, v4                                       // 0000000049CC: 7E084504
	v_rcp_f32_e32 v5, v5                                       // 0000000049D0: 7E0A4505
	v_rcp_f32_e32 v6, v6                                       // 0000000049D4: 7E0C4506
	v_rcp_f32_e32 v7, v7                                       // 0000000049D8: 7E0E4507
	v_mul_f32_e32 v52, v52, v4                                 // 0000000049DC: 0A680934
	v_mul_f32_e32 v53, v53, v5                                 // 0000000049E0: 0A6A0B35
	v_mul_f32_e32 v54, v54, v6                                 // 0000000049E4: 0A6C0D36
	v_mul_f32_e32 v55, v55, v7                                 // 0000000049E8: 0A6E0F37
	v_mul_f32_e32 v52, v52, v76                                // 0000000049EC: 0A689934
	v_mul_f32_e32 v53, v53, v77                                // 0000000049F0: 0A6A9B35
	v_mul_f32_e32 v54, v54, v78                                // 0000000049F4: 0A6C9D36
	v_mul_f32_e32 v55, v55, v79                                // 0000000049F8: 0A6E9F37
	v_mul_f32_e64 v4, -v56, s6                                 // 0000000049FC: D1050004 20000D38
	v_mul_f32_e64 v5, -v57, s6                                 // 000000004A04: D1050005 20000D39
	v_mul_f32_e64 v6, -v58, s6                                 // 000000004A0C: D1050006 20000D3A
	v_mul_f32_e64 v7, -v59, s6                                 // 000000004A14: D1050007 20000D3B
	v_exp_f32_e32 v4, v4                                       // 000000004A1C: 7E084104
	v_exp_f32_e32 v5, v5                                       // 000000004A20: 7E0A4105
	v_exp_f32_e32 v6, v6                                       // 000000004A24: 7E0C4106
	v_exp_f32_e32 v7, v7                                       // 000000004A28: 7E0E4107
	v_add_f32_e64 v4, v4, 1.0                                  // 000000004A2C: D1010004 0001E504
	v_add_f32_e64 v5, v5, 1.0                                  // 000000004A34: D1010005 0001E505
	v_add_f32_e64 v6, v6, 1.0                                  // 000000004A3C: D1010006 0001E506
	v_add_f32_e64 v7, v7, 1.0                                  // 000000004A44: D1010007 0001E507
	v_rcp_f32_e32 v4, v4                                       // 000000004A4C: 7E084504
	v_rcp_f32_e32 v5, v5                                       // 000000004A50: 7E0A4505
	v_rcp_f32_e32 v6, v6                                       // 000000004A54: 7E0C4506
	v_rcp_f32_e32 v7, v7                                       // 000000004A58: 7E0E4507
	v_mul_f32_e32 v56, v56, v4                                 // 000000004A5C: 0A700938
	v_mul_f32_e32 v57, v57, v5                                 // 000000004A60: 0A720B39
	v_mul_f32_e32 v58, v58, v6                                 // 000000004A64: 0A740D3A
	v_mul_f32_e32 v59, v59, v7                                 // 000000004A68: 0A760F3B
	v_mul_f32_e32 v56, v56, v80                                // 000000004A6C: 0A70A138
	v_mul_f32_e32 v57, v57, v81                                // 000000004A70: 0A72A339
	v_mul_f32_e32 v58, v58, v82                                // 000000004A74: 0A74A53A
	v_mul_f32_e32 v59, v59, v83                                // 000000004A78: 0A76A73B
	v_mul_f32_e64 v4, -v60, s6                                 // 000000004A7C: D1050004 20000D3C
	v_mul_f32_e64 v5, -v61, s6                                 // 000000004A84: D1050005 20000D3D
	v_mul_f32_e64 v6, -v62, s6                                 // 000000004A8C: D1050006 20000D3E
	v_mul_f32_e64 v7, -v63, s6                                 // 000000004A94: D1050007 20000D3F
	v_exp_f32_e32 v4, v4                                       // 000000004A9C: 7E084104
	v_exp_f32_e32 v5, v5                                       // 000000004AA0: 7E0A4105
	v_exp_f32_e32 v6, v6                                       // 000000004AA4: 7E0C4106
	v_exp_f32_e32 v7, v7                                       // 000000004AA8: 7E0E4107
	v_add_f32_e64 v4, v4, 1.0                                  // 000000004AAC: D1010004 0001E504
	v_add_f32_e64 v5, v5, 1.0                                  // 000000004AB4: D1010005 0001E505
	v_add_f32_e64 v6, v6, 1.0                                  // 000000004ABC: D1010006 0001E506
	v_add_f32_e64 v7, v7, 1.0                                  // 000000004AC4: D1010007 0001E507
	v_rcp_f32_e32 v4, v4                                       // 000000004ACC: 7E084504
	v_rcp_f32_e32 v5, v5                                       // 000000004AD0: 7E0A4505
	v_rcp_f32_e32 v6, v6                                       // 000000004AD4: 7E0C4506
	v_rcp_f32_e32 v7, v7                                       // 000000004AD8: 7E0E4507
	v_mul_f32_e32 v60, v60, v4                                 // 000000004ADC: 0A78093C
	v_mul_f32_e32 v61, v61, v5                                 // 000000004AE0: 0A7A0B3D
	v_mul_f32_e32 v62, v62, v6                                 // 000000004AE4: 0A7C0D3E
	v_mul_f32_e32 v63, v63, v7                                 // 000000004AE8: 0A7E0F3F
	v_mul_f32_e32 v60, v60, v84                                // 000000004AEC: 0A78A93C
	v_mul_f32_e32 v61, v61, v85                                // 000000004AF0: 0A7AAB3D
	v_mul_f32_e32 v62, v62, v86                                // 000000004AF4: 0A7CAD3E
	v_mul_f32_e32 v63, v63, v87                                // 000000004AF8: 0A7EAF3F
	v_mul_f32_e64 v4, -v64, s6                                 // 000000004AFC: D1050004 20000D40
	v_mul_f32_e64 v5, -v65, s6                                 // 000000004B04: D1050005 20000D41
	v_mul_f32_e64 v6, -v66, s6                                 // 000000004B0C: D1050006 20000D42
	v_mul_f32_e64 v7, -v67, s6                                 // 000000004B14: D1050007 20000D43
	v_exp_f32_e32 v4, v4                                       // 000000004B1C: 7E084104
	v_exp_f32_e32 v5, v5                                       // 000000004B20: 7E0A4105
	v_exp_f32_e32 v6, v6                                       // 000000004B24: 7E0C4106
	v_exp_f32_e32 v7, v7                                       // 000000004B28: 7E0E4107
	v_add_f32_e64 v4, v4, 1.0                                  // 000000004B2C: D1010004 0001E504
	v_add_f32_e64 v5, v5, 1.0                                  // 000000004B34: D1010005 0001E505
	v_add_f32_e64 v6, v6, 1.0                                  // 000000004B3C: D1010006 0001E506
	v_add_f32_e64 v7, v7, 1.0                                  // 000000004B44: D1010007 0001E507
	v_rcp_f32_e32 v4, v4                                       // 000000004B4C: 7E084504
	v_rcp_f32_e32 v5, v5                                       // 000000004B50: 7E0A4505
	v_rcp_f32_e32 v6, v6                                       // 000000004B54: 7E0C4506
	v_rcp_f32_e32 v7, v7                                       // 000000004B58: 7E0E4507
	v_mul_f32_e32 v64, v64, v4                                 // 000000004B5C: 0A800940
	v_mul_f32_e32 v65, v65, v5                                 // 000000004B60: 0A820B41
	v_mul_f32_e32 v66, v66, v6                                 // 000000004B64: 0A840D42
	v_mul_f32_e32 v67, v67, v7                                 // 000000004B68: 0A860F43
	v_mul_f32_e32 v64, v64, v88                                // 000000004B6C: 0A80B140
	v_mul_f32_e32 v65, v65, v89                                // 000000004B70: 0A82B341
	v_mul_f32_e32 v66, v66, v90                                // 000000004B74: 0A84B542
	v_mul_f32_e32 v67, v67, v91                                // 000000004B78: 0A86B743
	v_mul_f32_e64 v4, -v68, s6                                 // 000000004B7C: D1050004 20000D44
	v_mul_f32_e64 v5, -v69, s6                                 // 000000004B84: D1050005 20000D45
	v_mul_f32_e64 v6, -v70, s6                                 // 000000004B8C: D1050006 20000D46
	v_mul_f32_e64 v7, -v71, s6                                 // 000000004B94: D1050007 20000D47
	v_exp_f32_e32 v4, v4                                       // 000000004B9C: 7E084104
	v_exp_f32_e32 v5, v5                                       // 000000004BA0: 7E0A4105
	v_exp_f32_e32 v6, v6                                       // 000000004BA4: 7E0C4106
	v_exp_f32_e32 v7, v7                                       // 000000004BA8: 7E0E4107
	v_add_f32_e64 v4, v4, 1.0                                  // 000000004BAC: D1010004 0001E504
	v_add_f32_e64 v5, v5, 1.0                                  // 000000004BB4: D1010005 0001E505
	v_add_f32_e64 v6, v6, 1.0                                  // 000000004BBC: D1010006 0001E506
	v_add_f32_e64 v7, v7, 1.0                                  // 000000004BC4: D1010007 0001E507
	v_rcp_f32_e32 v4, v4                                       // 000000004BCC: 7E084504
	v_rcp_f32_e32 v5, v5                                       // 000000004BD0: 7E0A4505
	v_rcp_f32_e32 v6, v6                                       // 000000004BD4: 7E0C4506
	v_rcp_f32_e32 v7, v7                                       // 000000004BD8: 7E0E4507
	v_mul_f32_e32 v68, v68, v4                                 // 000000004BDC: 0A880944
	v_mul_f32_e32 v69, v69, v5                                 // 000000004BE0: 0A8A0B45
	v_mul_f32_e32 v70, v70, v6                                 // 000000004BE4: 0A8C0D46
	v_mul_f32_e32 v71, v71, v7                                 // 000000004BE8: 0A8E0F47
	v_mul_f32_e32 v68, v68, v92                                // 000000004BEC: 0A88B944
	v_mul_f32_e32 v69, v69, v93                                // 000000004BF0: 0A8ABB45
	v_mul_f32_e32 v70, v70, v94                                // 000000004BF4: 0A8CBD46
	v_mul_f32_e32 v71, v71, v95                                // 000000004BF8: 0A8EBF47
	v_mul_f32_e64 v4, -v72, s6                                 // 000000004BFC: D1050004 20000D48
	v_mul_f32_e64 v5, -v73, s6                                 // 000000004C04: D1050005 20000D49
	v_mul_f32_e64 v6, -v74, s6                                 // 000000004C0C: D1050006 20000D4A
	v_mul_f32_e64 v7, -v75, s6                                 // 000000004C14: D1050007 20000D4B
	v_exp_f32_e32 v4, v4                                       // 000000004C1C: 7E084104
	v_exp_f32_e32 v5, v5                                       // 000000004C20: 7E0A4105
	v_exp_f32_e32 v6, v6                                       // 000000004C24: 7E0C4106
	v_exp_f32_e32 v7, v7                                       // 000000004C28: 7E0E4107
	v_add_f32_e64 v4, v4, 1.0                                  // 000000004C2C: D1010004 0001E504
	v_add_f32_e64 v5, v5, 1.0                                  // 000000004C34: D1010005 0001E505
	v_add_f32_e64 v6, v6, 1.0                                  // 000000004C3C: D1010006 0001E506
	v_add_f32_e64 v7, v7, 1.0                                  // 000000004C44: D1010007 0001E507
	v_rcp_f32_e32 v4, v4                                       // 000000004C4C: 7E084504
	v_rcp_f32_e32 v5, v5                                       // 000000004C50: 7E0A4505
	v_rcp_f32_e32 v6, v6                                       // 000000004C54: 7E0C4506
	v_rcp_f32_e32 v7, v7                                       // 000000004C58: 7E0E4507
	v_mul_f32_e32 v72, v72, v4                                 // 000000004C5C: 0A900948
	v_mul_f32_e32 v73, v73, v5                                 // 000000004C60: 0A920B49
	v_mul_f32_e32 v74, v74, v6                                 // 000000004C64: 0A940D4A
	v_mul_f32_e32 v75, v75, v7                                 // 000000004C68: 0A960F4B
	v_mul_f32_e32 v72, v72, v96                                // 000000004C6C: 0A90C148
	v_mul_f32_e32 v73, v73, v97                                // 000000004C70: 0A92C349
	v_mul_f32_e32 v74, v74, v98                                // 000000004C74: 0A94C54A
	v_mul_f32_e32 v75, v75, v99                                // 000000004C78: 0A96C74B

0000000000004c7c <label_089F>:
	v_cmp_u_f32_e64 s[46:47], v52, v52                         // 000000004C7C: D048002E 00026934
	v_add3_u32 v16, v52, v19, 1                                // 000000004C84: D1FF0010 02062734
	v_cndmask_b32_e64 v4, v16, v18, s[46:47]                   // 000000004C8C: D1000004 00BA2510
	v_cmp_u_f32_e64 s[46:47], v53, v53                         // 000000004C94: D048002E 00026B35
	v_add3_u32 v16, v53, v19, 1                                // 000000004C9C: D1FF0010 02062735
	v_cndmask_b32_e64 v5, v16, v18, s[46:47]                   // 000000004CA4: D1000005 00BA2510
	v_perm_b32 v52, v5, v4, s52                                // 000000004CAC: D1ED0034 00D20905
	v_cmp_u_f32_e64 s[46:47], v54, v54                         // 000000004CB4: D048002E 00026D36
	v_add3_u32 v16, v54, v19, 1                                // 000000004CBC: D1FF0010 02062736
	v_cndmask_b32_e64 v4, v16, v18, s[46:47]                   // 000000004CC4: D1000004 00BA2510
	v_cmp_u_f32_e64 s[46:47], v55, v55                         // 000000004CCC: D048002E 00026F37
	v_add3_u32 v16, v55, v19, 1                                // 000000004CD4: D1FF0010 02062737
	v_cndmask_b32_e64 v5, v16, v18, s[46:47]                   // 000000004CDC: D1000005 00BA2510
	v_perm_b32 v53, v5, v4, s52                                // 000000004CE4: D1ED0035 00D20905
	v_cmp_u_f32_e64 s[46:47], v56, v56                         // 000000004CEC: D048002E 00027138
	v_add3_u32 v16, v56, v19, 1                                // 000000004CF4: D1FF0010 02062738
	v_cndmask_b32_e64 v4, v16, v18, s[46:47]                   // 000000004CFC: D1000004 00BA2510
	v_cmp_u_f32_e64 s[46:47], v57, v57                         // 000000004D04: D048002E 00027339
	v_add3_u32 v16, v57, v19, 1                                // 000000004D0C: D1FF0010 02062739
	v_cndmask_b32_e64 v5, v16, v18, s[46:47]                   // 000000004D14: D1000005 00BA2510
	v_perm_b32 v54, v5, v4, s52                                // 000000004D1C: D1ED0036 00D20905
	v_cmp_u_f32_e64 s[46:47], v58, v58                         // 000000004D24: D048002E 0002753A
	v_add3_u32 v16, v58, v19, 1                                // 000000004D2C: D1FF0010 0206273A
	v_cndmask_b32_e64 v4, v16, v18, s[46:47]                   // 000000004D34: D1000004 00BA2510
	v_cmp_u_f32_e64 s[46:47], v59, v59                         // 000000004D3C: D048002E 0002773B
	v_add3_u32 v16, v59, v19, 1                                // 000000004D44: D1FF0010 0206273B
	v_cndmask_b32_e64 v5, v16, v18, s[46:47]                   // 000000004D4C: D1000005 00BA2510
	v_perm_b32 v55, v5, v4, s52                                // 000000004D54: D1ED0037 00D20905
	v_cmp_u_f32_e64 s[46:47], v60, v60                         // 000000004D5C: D048002E 0002793C
	v_add3_u32 v16, v60, v19, 1                                // 000000004D64: D1FF0010 0206273C
	v_cndmask_b32_e64 v4, v16, v18, s[46:47]                   // 000000004D6C: D1000004 00BA2510
	v_cmp_u_f32_e64 s[46:47], v61, v61                         // 000000004D74: D048002E 00027B3D
	v_add3_u32 v16, v61, v19, 1                                // 000000004D7C: D1FF0010 0206273D
	v_cndmask_b32_e64 v5, v16, v18, s[46:47]                   // 000000004D84: D1000005 00BA2510
	v_perm_b32 v56, v5, v4, s52                                // 000000004D8C: D1ED0038 00D20905
	v_cmp_u_f32_e64 s[46:47], v62, v62                         // 000000004D94: D048002E 00027D3E
	v_add3_u32 v16, v62, v19, 1                                // 000000004D9C: D1FF0010 0206273E
	v_cndmask_b32_e64 v4, v16, v18, s[46:47]                   // 000000004DA4: D1000004 00BA2510
	v_cmp_u_f32_e64 s[46:47], v63, v63                         // 000000004DAC: D048002E 00027F3F
	v_add3_u32 v16, v63, v19, 1                                // 000000004DB4: D1FF0010 0206273F
	v_cndmask_b32_e64 v5, v16, v18, s[46:47]                   // 000000004DBC: D1000005 00BA2510
	v_perm_b32 v57, v5, v4, s52                                // 000000004DC4: D1ED0039 00D20905
	v_cmp_u_f32_e64 s[46:47], v64, v64                         // 000000004DCC: D048002E 00028140
	v_add3_u32 v16, v64, v19, 1                                // 000000004DD4: D1FF0010 02062740
	v_cndmask_b32_e64 v4, v16, v18, s[46:47]                   // 000000004DDC: D1000004 00BA2510
	v_cmp_u_f32_e64 s[46:47], v65, v65                         // 000000004DE4: D048002E 00028341
	v_add3_u32 v16, v65, v19, 1                                // 000000004DEC: D1FF0010 02062741
	v_cndmask_b32_e64 v5, v16, v18, s[46:47]                   // 000000004DF4: D1000005 00BA2510
	v_perm_b32 v58, v5, v4, s52                                // 000000004DFC: D1ED003A 00D20905
	v_cmp_u_f32_e64 s[46:47], v66, v66                         // 000000004E04: D048002E 00028542
	v_add3_u32 v16, v66, v19, 1                                // 000000004E0C: D1FF0010 02062742
	v_cndmask_b32_e64 v4, v16, v18, s[46:47]                   // 000000004E14: D1000004 00BA2510
	v_cmp_u_f32_e64 s[46:47], v67, v67                         // 000000004E1C: D048002E 00028743
	v_add3_u32 v16, v67, v19, 1                                // 000000004E24: D1FF0010 02062743
	v_cndmask_b32_e64 v5, v16, v18, s[46:47]                   // 000000004E2C: D1000005 00BA2510
	v_perm_b32 v59, v5, v4, s52                                // 000000004E34: D1ED003B 00D20905
	v_cmp_u_f32_e64 s[46:47], v68, v68                         // 000000004E3C: D048002E 00028944
	v_add3_u32 v16, v68, v19, 1                                // 000000004E44: D1FF0010 02062744
	v_cndmask_b32_e64 v4, v16, v18, s[46:47]                   // 000000004E4C: D1000004 00BA2510
	v_cmp_u_f32_e64 s[46:47], v69, v69                         // 000000004E54: D048002E 00028B45
	v_add3_u32 v16, v69, v19, 1                                // 000000004E5C: D1FF0010 02062745
	v_cndmask_b32_e64 v5, v16, v18, s[46:47]                   // 000000004E64: D1000005 00BA2510
	v_perm_b32 v60, v5, v4, s52                                // 000000004E6C: D1ED003C 00D20905
	v_cmp_u_f32_e64 s[46:47], v70, v70                         // 000000004E74: D048002E 00028D46
	v_add3_u32 v16, v70, v19, 1                                // 000000004E7C: D1FF0010 02062746
	v_cndmask_b32_e64 v4, v16, v18, s[46:47]                   // 000000004E84: D1000004 00BA2510
	v_cmp_u_f32_e64 s[46:47], v71, v71                         // 000000004E8C: D048002E 00028F47
	v_add3_u32 v16, v71, v19, 1                                // 000000004E94: D1FF0010 02062747
	v_cndmask_b32_e64 v5, v16, v18, s[46:47]                   // 000000004E9C: D1000005 00BA2510
	v_perm_b32 v61, v5, v4, s52                                // 000000004EA4: D1ED003D 00D20905
	v_cmp_u_f32_e64 s[46:47], v72, v72                         // 000000004EAC: D048002E 00029148
	v_add3_u32 v16, v72, v19, 1                                // 000000004EB4: D1FF0010 02062748
	v_cndmask_b32_e64 v4, v16, v18, s[46:47]                   // 000000004EBC: D1000004 00BA2510
	v_cmp_u_f32_e64 s[46:47], v73, v73                         // 000000004EC4: D048002E 00029349
	v_add3_u32 v16, v73, v19, 1                                // 000000004ECC: D1FF0010 02062749
	v_cndmask_b32_e64 v5, v16, v18, s[46:47]                   // 000000004ED4: D1000005 00BA2510
	v_perm_b32 v62, v5, v4, s52                                // 000000004EDC: D1ED003E 00D20905
	v_cmp_u_f32_e64 s[46:47], v74, v74                         // 000000004EE4: D048002E 0002954A
	v_add3_u32 v16, v74, v19, 1                                // 000000004EEC: D1FF0010 0206274A
	v_cndmask_b32_e64 v4, v16, v18, s[46:47]                   // 000000004EF4: D1000004 00BA2510
	v_cmp_u_f32_e64 s[46:47], v75, v75                         // 000000004EFC: D048002E 0002974B
	v_add3_u32 v16, v75, v19, 1                                // 000000004F04: D1FF0010 0206274B
	v_cndmask_b32_e64 v5, v16, v18, s[46:47]                   // 000000004F0C: D1000005 00BA2510
	v_perm_b32 v63, v5, v4, s52                                // 000000004F14: D1ED003F 00D20905
	ds_write_b64 v20, v[52:53]                                 // 000000004F1C: D89A0000 00003414
	ds_write_b64 v20, v[54:55] offset:4352                     // 000000004F24: D89A1100 00003614
	ds_write_b64 v20, v[56:57] offset:8704                     // 000000004F2C: D89A2200 00003814
	ds_write_b64 v20, v[58:59] offset:2176                     // 000000004F34: D89A0880 00003A14
	ds_write_b64 v20, v[60:61] offset:6528                     // 000000004F3C: D89A1980 00003C14
	ds_write_b64 v20, v[62:63] offset:10880                    // 000000004F44: D89A2A80 00003E14
	v_lshrrev_b32_e32 v4, 5, v0                                // 000000004F4C: 20080085
	v_xor_b32_e32 v5, 1, v4                                    // 000000004F50: 2A0A0881
	s_mul_i32 s60, s65, 2                                      // 000000004F54: 923C8241
	s_cmp_eq_u32 s88, 0                                        // 000000004F58: BF068058
	s_cselect_b32 s61, 1, 4                                    // 000000004F5C: 853D8481
	s_mul_i32 s60, s61, s60                                    // 000000004F60: 923C3C3D
	v_readlane_b32 s82, v3, 0                                  // 000000004F64: D2890052 00010103
	s_lshr_b32 s61, s82, 24                                    // 000000004F6C: 8F3D9852
	s_and_b32 s82, s82, 0xffffff                               // 000000004F70: 8652FF52 00FFFFFF
	s_mul_i32 s82, s82, s71                                    // 000000004F78: 92524752
	s_mul_i32 s61, s60, s61                                    // 000000004F7C: 923D3D3C
	s_add_u32 s82, s82, s61                                    // 000000004F80: 80523D52
	v_mul_lo_u32 v6, v5, s82                                   // 000000004F84: D2850006 0000A505
	v_readlane_b32 s82, v3, 1                                  // 000000004F8C: D2890052 00010303
	s_lshr_b32 s61, s82, 24                                    // 000000004F94: 8F3D9852
	s_and_b32 s82, s82, 0xffffff                               // 000000004F98: 8652FF52 00FFFFFF
	s_mul_i32 s82, s82, s71                                    // 000000004FA0: 92524752
	s_mul_i32 s61, s60, s61                                    // 000000004FA4: 923D3D3C
	s_add_u32 s82, s82, s61                                    // 000000004FA8: 80523D52
	v_mul_lo_u32 v7, v4, s82                                   // 000000004FAC: D2850007 0000A504
	v_add_u32_e32 v42, v6, v7                                  // 000000004FB4: 68540F06
	v_readlane_b32 s82, v3, 2                                  // 000000004FB8: D2890052 00010503
	s_lshr_b32 s61, s82, 24                                    // 000000004FC0: 8F3D9852
	s_and_b32 s82, s82, 0xffffff                               // 000000004FC4: 8652FF52 00FFFFFF
	s_mul_i32 s82, s82, s71                                    // 000000004FCC: 92524752
	s_mul_i32 s61, s60, s61                                    // 000000004FD0: 923D3D3C
	s_add_u32 s82, s82, s61                                    // 000000004FD4: 80523D52
	v_mul_lo_u32 v6, v5, s82                                   // 000000004FD8: D2850006 0000A505
	v_readlane_b32 s82, v3, 3                                  // 000000004FE0: D2890052 00010703
	s_lshr_b32 s61, s82, 24                                    // 000000004FE8: 8F3D9852
	s_and_b32 s82, s82, 0xffffff                               // 000000004FEC: 8652FF52 00FFFFFF
	s_mul_i32 s82, s82, s71                                    // 000000004FF4: 92524752
	s_mul_i32 s61, s60, s61                                    // 000000004FF8: 923D3D3C
	s_add_u32 s82, s82, s61                                    // 000000004FFC: 80523D52
	v_mul_lo_u32 v7, v4, s82                                   // 000000005000: D2850007 0000A504
	v_add_u32_e32 v43, v6, v7                                  // 000000005008: 68560F06
	v_readlane_b32 s82, v3, 4                                  // 00000000500C: D2890052 00010903
	s_lshr_b32 s61, s82, 24                                    // 000000005014: 8F3D9852
	s_and_b32 s82, s82, 0xffffff                               // 000000005018: 8652FF52 00FFFFFF
	s_mul_i32 s82, s82, s71                                    // 000000005020: 92524752
	s_mul_i32 s61, s60, s61                                    // 000000005024: 923D3D3C
	s_add_u32 s82, s82, s61                                    // 000000005028: 80523D52
	v_mul_lo_u32 v6, v5, s82                                   // 00000000502C: D2850006 0000A505
	v_readlane_b32 s82, v3, 5                                  // 000000005034: D2890052 00010B03
	s_lshr_b32 s61, s82, 24                                    // 00000000503C: 8F3D9852
	s_and_b32 s82, s82, 0xffffff                               // 000000005040: 8652FF52 00FFFFFF
	s_mul_i32 s82, s82, s71                                    // 000000005048: 92524752
	s_mul_i32 s61, s60, s61                                    // 00000000504C: 923D3D3C
	s_add_u32 s82, s82, s61                                    // 000000005050: 80523D52
	v_mul_lo_u32 v7, v4, s82                                   // 000000005054: D2850007 0000A504
	v_add_u32_e32 v44, v6, v7                                  // 00000000505C: 68580F06
	v_readlane_b32 s82, v3, 6                                  // 000000005060: D2890052 00010D03
	s_lshr_b32 s61, s82, 24                                    // 000000005068: 8F3D9852
	s_and_b32 s82, s82, 0xffffff                               // 00000000506C: 8652FF52 00FFFFFF
	s_mul_i32 s82, s82, s71                                    // 000000005074: 92524752
	s_mul_i32 s61, s60, s61                                    // 000000005078: 923D3D3C
	s_add_u32 s82, s82, s61                                    // 00000000507C: 80523D52
	v_mul_lo_u32 v6, v5, s82                                   // 000000005080: D2850006 0000A505
	v_readlane_b32 s82, v3, 7                                  // 000000005088: D2890052 00010F03
	s_lshr_b32 s61, s82, 24                                    // 000000005090: 8F3D9852
	s_and_b32 s82, s82, 0xffffff                               // 000000005094: 8652FF52 00FFFFFF
	s_mul_i32 s82, s82, s71                                    // 00000000509C: 92524752
	s_mul_i32 s61, s60, s61                                    // 0000000050A0: 923D3D3C
	s_add_u32 s82, s82, s61                                    // 0000000050A4: 80523D52
	v_mul_lo_u32 v7, v4, s82                                   // 0000000050A8: D2850007 0000A504
	v_add_u32_e32 v45, v6, v7                                  // 0000000050B0: 685A0F06
	v_readlane_b32 s82, v3, 8                                  // 0000000050B4: D2890052 00011103
	s_lshr_b32 s61, s82, 24                                    // 0000000050BC: 8F3D9852
	s_and_b32 s82, s82, 0xffffff                               // 0000000050C0: 8652FF52 00FFFFFF
	s_mul_i32 s82, s82, s71                                    // 0000000050C8: 92524752
	s_mul_i32 s61, s60, s61                                    // 0000000050CC: 923D3D3C
	s_add_u32 s82, s82, s61                                    // 0000000050D0: 80523D52
	v_mul_lo_u32 v6, v5, s82                                   // 0000000050D4: D2850006 0000A505
	v_readlane_b32 s82, v3, 9                                  // 0000000050DC: D2890052 00011303
	s_lshr_b32 s61, s82, 24                                    // 0000000050E4: 8F3D9852
	s_and_b32 s82, s82, 0xffffff                               // 0000000050E8: 8652FF52 00FFFFFF
	s_mul_i32 s82, s82, s71                                    // 0000000050F0: 92524752
	s_mul_i32 s61, s60, s61                                    // 0000000050F4: 923D3D3C
	s_add_u32 s82, s82, s61                                    // 0000000050F8: 80523D52
	v_mul_lo_u32 v7, v4, s82                                   // 0000000050FC: D2850007 0000A504
	v_add_u32_e32 v46, v6, v7                                  // 000000005104: 685C0F06
	v_readlane_b32 s82, v3, 10                                 // 000000005108: D2890052 00011503
	s_lshr_b32 s61, s82, 24                                    // 000000005110: 8F3D9852
	s_and_b32 s82, s82, 0xffffff                               // 000000005114: 8652FF52 00FFFFFF
	s_mul_i32 s82, s82, s71                                    // 00000000511C: 92524752
	s_mul_i32 s61, s60, s61                                    // 000000005120: 923D3D3C
	s_add_u32 s82, s82, s61                                    // 000000005124: 80523D52
	v_mul_lo_u32 v6, v5, s82                                   // 000000005128: D2850006 0000A505
	v_readlane_b32 s82, v3, 11                                 // 000000005130: D2890052 00011703
	s_lshr_b32 s61, s82, 24                                    // 000000005138: 8F3D9852
	s_and_b32 s82, s82, 0xffffff                               // 00000000513C: 8652FF52 00FFFFFF
	s_mul_i32 s82, s82, s71                                    // 000000005144: 92524752
	s_mul_i32 s61, s60, s61                                    // 000000005148: 923D3D3C
	s_add_u32 s82, s82, s61                                    // 00000000514C: 80523D52
	v_mul_lo_u32 v7, v4, s82                                   // 000000005150: D2850007 0000A504
	v_add_u32_e32 v47, v6, v7                                  // 000000005158: 685E0F06
	v_and_b32_e32 v4, 31, v0                                   // 00000000515C: 2608009F
	v_lshrrev_b32_e32 v4, 1, v4                                // 000000005160: 20080881
	s_cmp_eq_u32 s88, 0                                        // 000000005164: BF068058
	s_cselect_b32 s61, 2, 4                                    // 000000005168: 853D8482
	v_mul_lo_u32 v4, v4, s61                                   // 00000000516C: D2850004 00007B04
	v_and_b32_e64 v5, v0, 1                                    // 000000005174: D1130005 00010300
	v_add_u32_e32 v4, v4, v5                                   // 00000000517C: 68080B04
	v_lshlrev_b32_e32 v4, 2, v4                                // 000000005180: 24080882
	v_add_u32_e32 v42, v42, v4                                 // 000000005184: 6854092A
	v_add_u32_e32 v43, v43, v4                                 // 000000005188: 6856092B
	v_add_u32_e32 v44, v44, v4                                 // 00000000518C: 6858092C
	v_add_u32_e32 v45, v45, v4                                 // 000000005190: 685A092D
	v_add_u32_e32 v46, v46, v4                                 // 000000005194: 685C092E
	v_add_u32_e32 v47, v47, v4                                 // 000000005198: 685E092F
	s_waitcnt lgkmcnt(0)                                       // 00000000519C: BF8CC07F
	s_barrier                                                  // 0000000051A0: BF8A0000
	ds_read_b32 v52, v21                                       // 0000000051A4: D86C0000 34000015
	ds_read_b32 v53, v21 offset:64                             // 0000000051AC: D86C0040 35000015
	ds_read_b32 v54, v21 offset:2176                           // 0000000051B4: D86C0880 36000015
	ds_read_b32 v55, v21 offset:2240                           // 0000000051BC: D86C08C0 37000015
	ds_read_b32 v56, v21 offset:4352                           // 0000000051C4: D86C1100 38000015
	ds_read_b32 v57, v21 offset:4416                           // 0000000051CC: D86C1140 39000015
	ds_read_b32 v58, v21 offset:6528                           // 0000000051D4: D86C1980 3A000015
	ds_read_b32 v59, v21 offset:6592                           // 0000000051DC: D86C19C0 3B000015
	ds_read_b32 v60, v21 offset:8704                           // 0000000051E4: D86C2200 3C000015
	ds_read_b32 v61, v21 offset:8768                           // 0000000051EC: D86C2240 3D000015
	ds_read_b32 v62, v21 offset:10880                          // 0000000051F4: D86C2A80 3E000015
	ds_read_b32 v63, v21 offset:10944                          // 0000000051FC: D86C2AC0 3F000015
	s_waitcnt lgkmcnt(0)                                       // 000000005204: BF8CC07F
	s_mov_b32 s36, -1                                          // 000000005208: BEA400C1
	s_mov_b32 s37, -1                                          // 00000000520C: BEA500C1
	v_mov_b32_e32 v7, 0                                        // 000000005210: 7E0E0280
	s_or_b32 s9, s9, 0x40000                                   // 000000005214: 8709FF09 00040000
	s_mov_b64 exec, s[36:37]                                   // 00000000521C: BEFE0124
	v_mov_b32_e32 v6, v42                                      // 000000005220: 7E0C032A
	s_mov_b64 s[60:61], 0                                      // 000000005224: BEBC0180
	v_readlane_b32 s82, v3, 0                                  // 000000005228: D2890052 00010103
	s_and_b32 s82, s82, 0xffffff                               // 000000005230: 8652FF52 00FFFFFF
	s_cmp_lt_u32 s82, s66                                      // 000000005238: BF0A4252
	s_cselect_b32 s20, s36, s60                                // 00000000523C: 85143C24
	v_readlane_b32 s82, v3, 1                                  // 000000005240: D2890052 00010303
	s_and_b32 s82, s82, 0xffffff                               // 000000005248: 8652FF52 00FFFFFF
	s_cmp_lt_u32 s82, s66                                      // 000000005250: BF0A4252
	s_cselect_b32 s21, s36, s60                                // 000000005254: 85153C24
	s_mov_b64 exec, s[20:21]                                   // 000000005258: BEFE0114
	buffer_store_dword v52, v6, s[8:11], 0 offen               // 00000000525C: E0701000 80023406
	buffer_store_dword v54, v6, s[8:11], 0 offen offset:128    // 000000005264: E0701080 80023606
	s_mov_b64 exec, s[36:37]                                   // 00000000526C: BEFE0124
	v_mov_b32_e32 v6, v43                                      // 000000005270: 7E0C032B
	s_mov_b64 s[60:61], 0                                      // 000000005274: BEBC0180
	v_readlane_b32 s82, v3, 2                                  // 000000005278: D2890052 00010503
	s_and_b32 s82, s82, 0xffffff                               // 000000005280: 8652FF52 00FFFFFF
	s_cmp_lt_u32 s82, s66                                      // 000000005288: BF0A4252
	s_cselect_b32 s20, s36, s60                                // 00000000528C: 85143C24
	v_readlane_b32 s82, v3, 3                                  // 000000005290: D2890052 00010703
	s_and_b32 s82, s82, 0xffffff                               // 000000005298: 8652FF52 00FFFFFF
	s_cmp_lt_u32 s82, s66                                      // 0000000052A0: BF0A4252
	s_cselect_b32 s21, s36, s60                                // 0000000052A4: 85153C24
	s_mov_b64 exec, s[20:21]                                   // 0000000052A8: BEFE0114
	buffer_store_dword v53, v6, s[8:11], 0 offen               // 0000000052AC: E0701000 80023506
	buffer_store_dword v55, v6, s[8:11], 0 offen offset:128    // 0000000052B4: E0701080 80023706
	s_mov_b64 exec, s[36:37]                                   // 0000000052BC: BEFE0124
	v_mov_b32_e32 v6, v44                                      // 0000000052C0: 7E0C032C
	s_mov_b64 s[60:61], 0                                      // 0000000052C4: BEBC0180
	v_readlane_b32 s82, v3, 4                                  // 0000000052C8: D2890052 00010903
	s_and_b32 s82, s82, 0xffffff                               // 0000000052D0: 8652FF52 00FFFFFF
	s_cmp_lt_u32 s82, s66                                      // 0000000052D8: BF0A4252
	s_cselect_b32 s20, s36, s60                                // 0000000052DC: 85143C24
	v_readlane_b32 s82, v3, 5                                  // 0000000052E0: D2890052 00010B03
	s_and_b32 s82, s82, 0xffffff                               // 0000000052E8: 8652FF52 00FFFFFF
	s_cmp_lt_u32 s82, s66                                      // 0000000052F0: BF0A4252
	s_cselect_b32 s21, s36, s60                                // 0000000052F4: 85153C24
	s_mov_b64 exec, s[20:21]                                   // 0000000052F8: BEFE0114
	buffer_store_dword v56, v6, s[8:11], 0 offen               // 0000000052FC: E0701000 80023806
	buffer_store_dword v58, v6, s[8:11], 0 offen offset:128    // 000000005304: E0701080 80023A06
	s_mov_b64 exec, s[36:37]                                   // 00000000530C: BEFE0124
	v_mov_b32_e32 v6, v45                                      // 000000005310: 7E0C032D
	s_mov_b64 s[60:61], 0                                      // 000000005314: BEBC0180
	v_readlane_b32 s82, v3, 6                                  // 000000005318: D2890052 00010D03
	s_and_b32 s82, s82, 0xffffff                               // 000000005320: 8652FF52 00FFFFFF
	s_cmp_lt_u32 s82, s66                                      // 000000005328: BF0A4252
	s_cselect_b32 s20, s36, s60                                // 00000000532C: 85143C24
	v_readlane_b32 s82, v3, 7                                  // 000000005330: D2890052 00010F03
	s_and_b32 s82, s82, 0xffffff                               // 000000005338: 8652FF52 00FFFFFF
	s_cmp_lt_u32 s82, s66                                      // 000000005340: BF0A4252
	s_cselect_b32 s21, s36, s60                                // 000000005344: 85153C24
	s_mov_b64 exec, s[20:21]                                   // 000000005348: BEFE0114
	buffer_store_dword v57, v6, s[8:11], 0 offen               // 00000000534C: E0701000 80023906
	buffer_store_dword v59, v6, s[8:11], 0 offen offset:128    // 000000005354: E0701080 80023B06
	s_mov_b64 exec, s[36:37]                                   // 00000000535C: BEFE0124
	v_mov_b32_e32 v6, v46                                      // 000000005360: 7E0C032E
	s_mov_b64 s[60:61], 0                                      // 000000005364: BEBC0180
	v_readlane_b32 s82, v3, 8                                  // 000000005368: D2890052 00011103
	s_and_b32 s82, s82, 0xffffff                               // 000000005370: 8652FF52 00FFFFFF
	s_cmp_lt_u32 s82, s66                                      // 000000005378: BF0A4252
	s_cselect_b32 s20, s36, s60                                // 00000000537C: 85143C24
	v_readlane_b32 s82, v3, 9                                  // 000000005380: D2890052 00011303
	s_and_b32 s82, s82, 0xffffff                               // 000000005388: 8652FF52 00FFFFFF
	s_cmp_lt_u32 s82, s66                                      // 000000005390: BF0A4252
	s_cselect_b32 s21, s36, s60                                // 000000005394: 85153C24
	s_mov_b64 exec, s[20:21]                                   // 000000005398: BEFE0114
	buffer_store_dword v60, v6, s[8:11], 0 offen               // 00000000539C: E0701000 80023C06
	buffer_store_dword v62, v6, s[8:11], 0 offen offset:128    // 0000000053A4: E0701080 80023E06
	s_mov_b64 exec, s[36:37]                                   // 0000000053AC: BEFE0124
	v_mov_b32_e32 v6, v47                                      // 0000000053B0: 7E0C032F
	s_mov_b64 s[60:61], 0                                      // 0000000053B4: BEBC0180
	v_readlane_b32 s82, v3, 10                                 // 0000000053B8: D2890052 00011503
	s_and_b32 s82, s82, 0xffffff                               // 0000000053C0: 8652FF52 00FFFFFF
	s_cmp_lt_u32 s82, s66                                      // 0000000053C8: BF0A4252
	s_cselect_b32 s20, s36, s60                                // 0000000053CC: 85143C24
	v_readlane_b32 s82, v3, 11                                 // 0000000053D0: D2890052 00011703
	s_and_b32 s82, s82, 0xffffff                               // 0000000053D8: 8652FF52 00FFFFFF
	s_cmp_lt_u32 s82, s66                                      // 0000000053E0: BF0A4252
	s_cselect_b32 s21, s36, s60                                // 0000000053E4: 85153C24
	s_mov_b64 exec, s[20:21]                                   // 0000000053E8: BEFE0114
	buffer_store_dword v61, v6, s[8:11], 0 offen               // 0000000053EC: E0701000 80023D06
	buffer_store_dword v63, v6, s[8:11], 0 offen offset:128    // 0000000053F4: E0701080 80023F06
	s_mov_b64 exec, s[36:37]                                   // 0000000053FC: BEFE0124
	s_branch label_1924                                        // 000000005400: BF820EA0

0000000000005404 <label_0A81>:
	ds_write_b64 v20, v[52:53]                                 // 000000005404: D89A0000 00003414
	ds_write_b64 v20, v[56:57] offset:4352                     // 00000000540C: D89A1100 00003814
	ds_write_b64 v20, v[60:61] offset:8704                     // 000000005414: D89A2200 00003C14
	ds_write_b64 v20, v[64:65] offset:2176                     // 00000000541C: D89A0880 00004014
	ds_write_b64 v20, v[68:69] offset:6528                     // 000000005424: D89A1980 00004414
	ds_write_b64 v20, v[72:73] offset:10880                    // 00000000542C: D89A2A80 00004814
	v_lshrrev_b32_e32 v4, 5, v0                                // 000000005434: 20080085
	v_xor_b32_e32 v5, 1, v4                                    // 000000005438: 2A0A0881
	s_mul_i32 s60, s65, 2                                      // 00000000543C: 923C8241
	s_cmp_eq_u32 s88, 0                                        // 000000005440: BF068058
	s_cselect_b32 s61, 1, 4                                    // 000000005444: 853D8481
	s_mul_i32 s60, s61, s60                                    // 000000005448: 923C3C3D
	v_readlane_b32 s82, v3, 0                                  // 00000000544C: D2890052 00010103
	s_lshr_b32 s61, s82, 24                                    // 000000005454: 8F3D9852
	s_and_b32 s82, s82, 0xffffff                               // 000000005458: 8652FF52 00FFFFFF
	s_mul_i32 s82, s82, s71                                    // 000000005460: 92524752
	s_mul_i32 s61, s60, s61                                    // 000000005464: 923D3D3C
	s_add_u32 s82, s82, s61                                    // 000000005468: 80523D52
	v_mul_lo_u32 v6, v5, s82                                   // 00000000546C: D2850006 0000A505
	v_readlane_b32 s82, v3, 1                                  // 000000005474: D2890052 00010303
	s_lshr_b32 s61, s82, 24                                    // 00000000547C: 8F3D9852
	s_and_b32 s82, s82, 0xffffff                               // 000000005480: 8652FF52 00FFFFFF
	s_mul_i32 s82, s82, s71                                    // 000000005488: 92524752
	s_mul_i32 s61, s60, s61                                    // 00000000548C: 923D3D3C
	s_add_u32 s82, s82, s61                                    // 000000005490: 80523D52
	v_mul_lo_u32 v7, v4, s82                                   // 000000005494: D2850007 0000A504
	v_add_u32_e32 v42, v6, v7                                  // 00000000549C: 68540F06
	v_readlane_b32 s82, v3, 2                                  // 0000000054A0: D2890052 00010503
	s_lshr_b32 s61, s82, 24                                    // 0000000054A8: 8F3D9852
	s_and_b32 s82, s82, 0xffffff                               // 0000000054AC: 8652FF52 00FFFFFF
	s_mul_i32 s82, s82, s71                                    // 0000000054B4: 92524752
	s_mul_i32 s61, s60, s61                                    // 0000000054B8: 923D3D3C
	s_add_u32 s82, s82, s61                                    // 0000000054BC: 80523D52
	v_mul_lo_u32 v6, v5, s82                                   // 0000000054C0: D2850006 0000A505
	v_readlane_b32 s82, v3, 3                                  // 0000000054C8: D2890052 00010703
	s_lshr_b32 s61, s82, 24                                    // 0000000054D0: 8F3D9852
	s_and_b32 s82, s82, 0xffffff                               // 0000000054D4: 8652FF52 00FFFFFF
	s_mul_i32 s82, s82, s71                                    // 0000000054DC: 92524752
	s_mul_i32 s61, s60, s61                                    // 0000000054E0: 923D3D3C
	s_add_u32 s82, s82, s61                                    // 0000000054E4: 80523D52
	v_mul_lo_u32 v7, v4, s82                                   // 0000000054E8: D2850007 0000A504
	v_add_u32_e32 v43, v6, v7                                  // 0000000054F0: 68560F06
	v_readlane_b32 s82, v3, 4                                  // 0000000054F4: D2890052 00010903
	s_lshr_b32 s61, s82, 24                                    // 0000000054FC: 8F3D9852
	s_and_b32 s82, s82, 0xffffff                               // 000000005500: 8652FF52 00FFFFFF
	s_mul_i32 s82, s82, s71                                    // 000000005508: 92524752
	s_mul_i32 s61, s60, s61                                    // 00000000550C: 923D3D3C
	s_add_u32 s82, s82, s61                                    // 000000005510: 80523D52
	v_mul_lo_u32 v6, v5, s82                                   // 000000005514: D2850006 0000A505
	v_readlane_b32 s82, v3, 5                                  // 00000000551C: D2890052 00010B03
	s_lshr_b32 s61, s82, 24                                    // 000000005524: 8F3D9852
	s_and_b32 s82, s82, 0xffffff                               // 000000005528: 8652FF52 00FFFFFF
	s_mul_i32 s82, s82, s71                                    // 000000005530: 92524752
	s_mul_i32 s61, s60, s61                                    // 000000005534: 923D3D3C
	s_add_u32 s82, s82, s61                                    // 000000005538: 80523D52
	v_mul_lo_u32 v7, v4, s82                                   // 00000000553C: D2850007 0000A504
	v_add_u32_e32 v44, v6, v7                                  // 000000005544: 68580F06
	v_readlane_b32 s82, v3, 6                                  // 000000005548: D2890052 00010D03
	s_lshr_b32 s61, s82, 24                                    // 000000005550: 8F3D9852
	s_and_b32 s82, s82, 0xffffff                               // 000000005554: 8652FF52 00FFFFFF
	s_mul_i32 s82, s82, s71                                    // 00000000555C: 92524752
	s_mul_i32 s61, s60, s61                                    // 000000005560: 923D3D3C
	s_add_u32 s82, s82, s61                                    // 000000005564: 80523D52
	v_mul_lo_u32 v6, v5, s82                                   // 000000005568: D2850006 0000A505
	v_readlane_b32 s82, v3, 7                                  // 000000005570: D2890052 00010F03
	s_lshr_b32 s61, s82, 24                                    // 000000005578: 8F3D9852
	s_and_b32 s82, s82, 0xffffff                               // 00000000557C: 8652FF52 00FFFFFF
	s_mul_i32 s82, s82, s71                                    // 000000005584: 92524752
	s_mul_i32 s61, s60, s61                                    // 000000005588: 923D3D3C
	s_add_u32 s82, s82, s61                                    // 00000000558C: 80523D52
	v_mul_lo_u32 v7, v4, s82                                   // 000000005590: D2850007 0000A504
	v_add_u32_e32 v45, v6, v7                                  // 000000005598: 685A0F06
	v_readlane_b32 s82, v3, 8                                  // 00000000559C: D2890052 00011103
	s_lshr_b32 s61, s82, 24                                    // 0000000055A4: 8F3D9852
	s_and_b32 s82, s82, 0xffffff                               // 0000000055A8: 8652FF52 00FFFFFF
	s_mul_i32 s82, s82, s71                                    // 0000000055B0: 92524752
	s_mul_i32 s61, s60, s61                                    // 0000000055B4: 923D3D3C
	s_add_u32 s82, s82, s61                                    // 0000000055B8: 80523D52
	v_mul_lo_u32 v6, v5, s82                                   // 0000000055BC: D2850006 0000A505
	v_readlane_b32 s82, v3, 9                                  // 0000000055C4: D2890052 00011303
	s_lshr_b32 s61, s82, 24                                    // 0000000055CC: 8F3D9852
	s_and_b32 s82, s82, 0xffffff                               // 0000000055D0: 8652FF52 00FFFFFF
	s_mul_i32 s82, s82, s71                                    // 0000000055D8: 92524752
	s_mul_i32 s61, s60, s61                                    // 0000000055DC: 923D3D3C
	s_add_u32 s82, s82, s61                                    // 0000000055E0: 80523D52
	v_mul_lo_u32 v7, v4, s82                                   // 0000000055E4: D2850007 0000A504
	v_add_u32_e32 v46, v6, v7                                  // 0000000055EC: 685C0F06
	v_readlane_b32 s82, v3, 10                                 // 0000000055F0: D2890052 00011503
	s_lshr_b32 s61, s82, 24                                    // 0000000055F8: 8F3D9852
	s_and_b32 s82, s82, 0xffffff                               // 0000000055FC: 8652FF52 00FFFFFF
	s_mul_i32 s82, s82, s71                                    // 000000005604: 92524752
	s_mul_i32 s61, s60, s61                                    // 000000005608: 923D3D3C
	s_add_u32 s82, s82, s61                                    // 00000000560C: 80523D52
	v_mul_lo_u32 v6, v5, s82                                   // 000000005610: D2850006 0000A505
	v_readlane_b32 s82, v3, 11                                 // 000000005618: D2890052 00011703
	s_lshr_b32 s61, s82, 24                                    // 000000005620: 8F3D9852
	s_and_b32 s82, s82, 0xffffff                               // 000000005624: 8652FF52 00FFFFFF
	s_mul_i32 s82, s82, s71                                    // 00000000562C: 92524752
	s_mul_i32 s61, s60, s61                                    // 000000005630: 923D3D3C
	s_add_u32 s82, s82, s61                                    // 000000005634: 80523D52
	v_mul_lo_u32 v7, v4, s82                                   // 000000005638: D2850007 0000A504
	v_add_u32_e32 v47, v6, v7                                  // 000000005640: 685E0F06
	v_and_b32_e32 v4, 31, v0                                   // 000000005644: 2608009F
	v_lshrrev_b32_e32 v4, 1, v4                                // 000000005648: 20080881
	s_cmp_eq_u32 s88, 0                                        // 00000000564C: BF068058
	s_cselect_b32 s61, 2, 4                                    // 000000005650: 853D8482
	v_mul_lo_u32 v4, v4, s61                                   // 000000005654: D2850004 00007B04
	v_and_b32_e64 v5, v0, 1                                    // 00000000565C: D1130005 00010300
	v_add_u32_e32 v4, v4, v5                                   // 000000005664: 68080B04
	v_lshlrev_b32_e32 v4, 2, v4                                // 000000005668: 24080882
	v_add_u32_e32 v42, v42, v4                                 // 00000000566C: 6854092A
	v_add_u32_e32 v43, v43, v4                                 // 000000005670: 6856092B
	v_add_u32_e32 v44, v44, v4                                 // 000000005674: 6858092C
	v_add_u32_e32 v45, v45, v4                                 // 000000005678: 685A092D
	v_add_u32_e32 v46, v46, v4                                 // 00000000567C: 685C092E
	v_add_u32_e32 v47, v47, v4                                 // 000000005680: 685E092F
	s_waitcnt lgkmcnt(0)                                       // 000000005684: BF8CC07F
	s_barrier                                                  // 000000005688: BF8A0000
	ds_read_b32 v52, v21                                       // 00000000568C: D86C0000 34000015
	ds_read_b32 v53, v21 offset:64                             // 000000005694: D86C0040 35000015
	ds_read_b32 v56, v21 offset:2176                           // 00000000569C: D86C0880 38000015
	ds_read_b32 v57, v21 offset:2240                           // 0000000056A4: D86C08C0 39000015
	ds_read_b32 v60, v21 offset:4352                           // 0000000056AC: D86C1100 3C000015
	ds_read_b32 v61, v21 offset:4416                           // 0000000056B4: D86C1140 3D000015
	ds_read_b32 v64, v21 offset:6528                           // 0000000056BC: D86C1980 40000015
	ds_read_b32 v65, v21 offset:6592                           // 0000000056C4: D86C19C0 41000015
	ds_read_b32 v68, v21 offset:8704                           // 0000000056CC: D86C2200 44000015
	ds_read_b32 v69, v21 offset:8768                           // 0000000056D4: D86C2240 45000015
	ds_read_b32 v72, v21 offset:10880                          // 0000000056DC: D86C2A80 48000015
	ds_read_b32 v73, v21 offset:10944                          // 0000000056E4: D86C2AC0 49000015
	s_waitcnt lgkmcnt(0)                                       // 0000000056EC: BF8CC07F
	s_mov_b32 s36, -1                                          // 0000000056F0: BEA400C1
	s_mov_b32 s37, -1                                          // 0000000056F4: BEA500C1
	v_mov_b32_e32 v7, 0                                        // 0000000056F8: 7E0E0280
	s_mov_b64 exec, s[36:37]                                   // 0000000056FC: BEFE0124
	v_mov_b32_e32 v6, v42                                      // 000000005700: 7E0C032A
	s_mov_b64 s[60:61], 0                                      // 000000005704: BEBC0180
	v_readlane_b32 s82, v3, 0                                  // 000000005708: D2890052 00010103
	s_and_b32 s82, s82, 0xffffff                               // 000000005710: 8652FF52 00FFFFFF
	s_cmp_lt_u32 s82, s66                                      // 000000005718: BF0A4252
	s_cselect_b32 s20, s36, s60                                // 00000000571C: 85143C24
	v_readlane_b32 s82, v3, 1                                  // 000000005720: D2890052 00010303
	s_and_b32 s82, s82, 0xffffff                               // 000000005728: 8652FF52 00FFFFFF
	s_cmp_lt_u32 s82, s66                                      // 000000005730: BF0A4252
	s_cselect_b32 s21, s36, s60                                // 000000005734: 85153C24
	s_mov_b64 exec, s[20:21]                                   // 000000005738: BEFE0114
	global_atomic_add_f32 v6, v52, s[8:9]                      // 00000000573C: DD348000 00083406
	global_atomic_add_f32 v6, v56, s[8:9] offset:256           // 000000005744: DD348100 00083806
	s_mov_b64 exec, s[36:37]                                   // 00000000574C: BEFE0124
	v_mov_b32_e32 v6, v43                                      // 000000005750: 7E0C032B
	s_mov_b64 s[60:61], 0                                      // 000000005754: BEBC0180
	v_readlane_b32 s82, v3, 2                                  // 000000005758: D2890052 00010503
	s_and_b32 s82, s82, 0xffffff                               // 000000005760: 8652FF52 00FFFFFF
	s_cmp_lt_u32 s82, s66                                      // 000000005768: BF0A4252
	s_cselect_b32 s20, s36, s60                                // 00000000576C: 85143C24
	v_readlane_b32 s82, v3, 3                                  // 000000005770: D2890052 00010703
	s_and_b32 s82, s82, 0xffffff                               // 000000005778: 8652FF52 00FFFFFF
	s_cmp_lt_u32 s82, s66                                      // 000000005780: BF0A4252
	s_cselect_b32 s21, s36, s60                                // 000000005784: 85153C24
	s_mov_b64 exec, s[20:21]                                   // 000000005788: BEFE0114
	global_atomic_add_f32 v6, v53, s[8:9]                      // 00000000578C: DD348000 00083506
	global_atomic_add_f32 v6, v57, s[8:9] offset:256           // 000000005794: DD348100 00083906
	s_mov_b64 exec, s[36:37]                                   // 00000000579C: BEFE0124
	v_mov_b32_e32 v6, v44                                      // 0000000057A0: 7E0C032C
	s_mov_b64 s[60:61], 0                                      // 0000000057A4: BEBC0180
	v_readlane_b32 s82, v3, 4                                  // 0000000057A8: D2890052 00010903
	s_and_b32 s82, s82, 0xffffff                               // 0000000057B0: 8652FF52 00FFFFFF
	s_cmp_lt_u32 s82, s66                                      // 0000000057B8: BF0A4252
	s_cselect_b32 s20, s36, s60                                // 0000000057BC: 85143C24
	v_readlane_b32 s82, v3, 5                                  // 0000000057C0: D2890052 00010B03
	s_and_b32 s82, s82, 0xffffff                               // 0000000057C8: 8652FF52 00FFFFFF
	s_cmp_lt_u32 s82, s66                                      // 0000000057D0: BF0A4252
	s_cselect_b32 s21, s36, s60                                // 0000000057D4: 85153C24
	s_mov_b64 exec, s[20:21]                                   // 0000000057D8: BEFE0114
	global_atomic_add_f32 v6, v60, s[8:9]                      // 0000000057DC: DD348000 00083C06
	global_atomic_add_f32 v6, v64, s[8:9] offset:256           // 0000000057E4: DD348100 00084006
	s_mov_b64 exec, s[36:37]                                   // 0000000057EC: BEFE0124
	v_mov_b32_e32 v6, v45                                      // 0000000057F0: 7E0C032D
	s_mov_b64 s[60:61], 0                                      // 0000000057F4: BEBC0180
	v_readlane_b32 s82, v3, 6                                  // 0000000057F8: D2890052 00010D03
	s_and_b32 s82, s82, 0xffffff                               // 000000005800: 8652FF52 00FFFFFF
	s_cmp_lt_u32 s82, s66                                      // 000000005808: BF0A4252
	s_cselect_b32 s20, s36, s60                                // 00000000580C: 85143C24
	v_readlane_b32 s82, v3, 7                                  // 000000005810: D2890052 00010F03
	s_and_b32 s82, s82, 0xffffff                               // 000000005818: 8652FF52 00FFFFFF
	s_cmp_lt_u32 s82, s66                                      // 000000005820: BF0A4252
	s_cselect_b32 s21, s36, s60                                // 000000005824: 85153C24
	s_mov_b64 exec, s[20:21]                                   // 000000005828: BEFE0114
	global_atomic_add_f32 v6, v61, s[8:9]                      // 00000000582C: DD348000 00083D06
	global_atomic_add_f32 v6, v65, s[8:9] offset:256           // 000000005834: DD348100 00084106
	s_mov_b64 exec, s[36:37]                                   // 00000000583C: BEFE0124
	v_mov_b32_e32 v6, v46                                      // 000000005840: 7E0C032E
	s_mov_b64 s[60:61], 0                                      // 000000005844: BEBC0180
	v_readlane_b32 s82, v3, 8                                  // 000000005848: D2890052 00011103
	s_and_b32 s82, s82, 0xffffff                               // 000000005850: 8652FF52 00FFFFFF
	s_cmp_lt_u32 s82, s66                                      // 000000005858: BF0A4252
	s_cselect_b32 s20, s36, s60                                // 00000000585C: 85143C24
	v_readlane_b32 s82, v3, 9                                  // 000000005860: D2890052 00011303
	s_and_b32 s82, s82, 0xffffff                               // 000000005868: 8652FF52 00FFFFFF
	s_cmp_lt_u32 s82, s66                                      // 000000005870: BF0A4252
	s_cselect_b32 s21, s36, s60                                // 000000005874: 85153C24
	s_mov_b64 exec, s[20:21]                                   // 000000005878: BEFE0114
	global_atomic_add_f32 v6, v68, s[8:9]                      // 00000000587C: DD348000 00084406
	global_atomic_add_f32 v6, v72, s[8:9] offset:256           // 000000005884: DD348100 00084806
	s_mov_b64 exec, s[36:37]                                   // 00000000588C: BEFE0124
	v_mov_b32_e32 v6, v47                                      // 000000005890: 7E0C032F
	s_mov_b64 s[60:61], 0                                      // 000000005894: BEBC0180
	v_readlane_b32 s82, v3, 10                                 // 000000005898: D2890052 00011503
	s_and_b32 s82, s82, 0xffffff                               // 0000000058A0: 8652FF52 00FFFFFF
	s_cmp_lt_u32 s82, s66                                      // 0000000058A8: BF0A4252
	s_cselect_b32 s20, s36, s60                                // 0000000058AC: 85143C24
	v_readlane_b32 s82, v3, 11                                 // 0000000058B0: D2890052 00011703
	s_and_b32 s82, s82, 0xffffff                               // 0000000058B8: 8652FF52 00FFFFFF
	s_cmp_lt_u32 s82, s66                                      // 0000000058C0: BF0A4252
	s_cselect_b32 s21, s36, s60                                // 0000000058C4: 85153C24
	s_mov_b64 exec, s[20:21]                                   // 0000000058C8: BEFE0114
	global_atomic_add_f32 v6, v69, s[8:9]                      // 0000000058CC: DD348000 00084506
	global_atomic_add_f32 v6, v73, s[8:9] offset:256           // 0000000058D4: DD348100 00084906
	s_mov_b64 exec, s[36:37]                                   // 0000000058DC: BEFE0124
	ds_write_b64 v20, v[54:55]                                 // 0000000058E0: D89A0000 00003614
	ds_write_b64 v20, v[58:59] offset:4352                     // 0000000058E8: D89A1100 00003A14
	ds_write_b64 v20, v[62:63] offset:8704                     // 0000000058F0: D89A2200 00003E14
	ds_write_b64 v20, v[66:67] offset:2176                     // 0000000058F8: D89A0880 00004214
	ds_write_b64 v20, v[70:71] offset:6528                     // 000000005900: D89A1980 00004614
	ds_write_b64 v20, v[74:75] offset:10880                    // 000000005908: D89A2A80 00004A14
	s_waitcnt lgkmcnt(0)                                       // 000000005910: BF8CC07F
	s_barrier                                                  // 000000005914: BF8A0000
	ds_read_b32 v54, v21                                       // 000000005918: D86C0000 36000015
	ds_read_b32 v55, v21 offset:64                             // 000000005920: D86C0040 37000015
	ds_read_b32 v58, v21 offset:2176                           // 000000005928: D86C0880 3A000015
	ds_read_b32 v59, v21 offset:2240                           // 000000005930: D86C08C0 3B000015
	ds_read_b32 v62, v21 offset:4352                           // 000000005938: D86C1100 3E000015
	ds_read_b32 v63, v21 offset:4416                           // 000000005940: D86C1140 3F000015
	ds_read_b32 v66, v21 offset:6528                           // 000000005948: D86C1980 42000015
	ds_read_b32 v67, v21 offset:6592                           // 000000005950: D86C19C0 43000015
	ds_read_b32 v70, v21 offset:8704                           // 000000005958: D86C2200 46000015
	ds_read_b32 v71, v21 offset:8768                           // 000000005960: D86C2240 47000015
	ds_read_b32 v74, v21 offset:10880                          // 000000005968: D86C2A80 4A000015
	ds_read_b32 v75, v21 offset:10944                          // 000000005970: D86C2AC0 4B000015
	s_waitcnt lgkmcnt(0)                                       // 000000005978: BF8CC07F
	v_mov_b32_e32 v7, 0                                        // 00000000597C: 7E0E0280
	s_mov_b64 exec, s[36:37]                                   // 000000005980: BEFE0124
	v_mov_b32_e32 v6, v42                                      // 000000005984: 7E0C032A
	s_mov_b64 s[60:61], 0                                      // 000000005988: BEBC0180
	v_readlane_b32 s82, v3, 0                                  // 00000000598C: D2890052 00010103
	s_and_b32 s82, s82, 0xffffff                               // 000000005994: 8652FF52 00FFFFFF
	s_cmp_lt_u32 s82, s66                                      // 00000000599C: BF0A4252
	s_cselect_b32 s20, s36, s60                                // 0000000059A0: 85143C24
	v_readlane_b32 s82, v3, 1                                  // 0000000059A4: D2890052 00010303
	s_and_b32 s82, s82, 0xffffff                               // 0000000059AC: 8652FF52 00FFFFFF
	s_cmp_lt_u32 s82, s66                                      // 0000000059B4: BF0A4252
	s_cselect_b32 s21, s36, s60                                // 0000000059B8: 85153C24
	s_mov_b64 exec, s[20:21]                                   // 0000000059BC: BEFE0114
	global_atomic_add_f32 v6, v54, s[8:9] offset:8             // 0000000059C0: DD348008 00083606
	global_atomic_add_f32 v6, v58, s[8:9] offset:264           // 0000000059C8: DD348108 00083A06
	s_mov_b64 exec, s[36:37]                                   // 0000000059D0: BEFE0124
	v_mov_b32_e32 v6, v43                                      // 0000000059D4: 7E0C032B
	s_mov_b64 s[60:61], 0                                      // 0000000059D8: BEBC0180
	v_readlane_b32 s82, v3, 2                                  // 0000000059DC: D2890052 00010503
	s_and_b32 s82, s82, 0xffffff                               // 0000000059E4: 8652FF52 00FFFFFF
	s_cmp_lt_u32 s82, s66                                      // 0000000059EC: BF0A4252
	s_cselect_b32 s20, s36, s60                                // 0000000059F0: 85143C24
	v_readlane_b32 s82, v3, 3                                  // 0000000059F4: D2890052 00010703
	s_and_b32 s82, s82, 0xffffff                               // 0000000059FC: 8652FF52 00FFFFFF
	s_cmp_lt_u32 s82, s66                                      // 000000005A04: BF0A4252
	s_cselect_b32 s21, s36, s60                                // 000000005A08: 85153C24
	s_mov_b64 exec, s[20:21]                                   // 000000005A0C: BEFE0114
	global_atomic_add_f32 v6, v55, s[8:9] offset:8             // 000000005A10: DD348008 00083706
	global_atomic_add_f32 v6, v59, s[8:9] offset:264           // 000000005A18: DD348108 00083B06
	s_mov_b64 exec, s[36:37]                                   // 000000005A20: BEFE0124
	v_mov_b32_e32 v6, v44                                      // 000000005A24: 7E0C032C
	s_mov_b64 s[60:61], 0                                      // 000000005A28: BEBC0180
	v_readlane_b32 s82, v3, 4                                  // 000000005A2C: D2890052 00010903
	s_and_b32 s82, s82, 0xffffff                               // 000000005A34: 8652FF52 00FFFFFF
	s_cmp_lt_u32 s82, s66                                      // 000000005A3C: BF0A4252
	s_cselect_b32 s20, s36, s60                                // 000000005A40: 85143C24
	v_readlane_b32 s82, v3, 5                                  // 000000005A44: D2890052 00010B03
	s_and_b32 s82, s82, 0xffffff                               // 000000005A4C: 8652FF52 00FFFFFF
	s_cmp_lt_u32 s82, s66                                      // 000000005A54: BF0A4252
	s_cselect_b32 s21, s36, s60                                // 000000005A58: 85153C24
	s_mov_b64 exec, s[20:21]                                   // 000000005A5C: BEFE0114
	global_atomic_add_f32 v6, v62, s[8:9] offset:8             // 000000005A60: DD348008 00083E06
	global_atomic_add_f32 v6, v66, s[8:9] offset:264           // 000000005A68: DD348108 00084206
	s_mov_b64 exec, s[36:37]                                   // 000000005A70: BEFE0124
	v_mov_b32_e32 v6, v45                                      // 000000005A74: 7E0C032D
	s_mov_b64 s[60:61], 0                                      // 000000005A78: BEBC0180
	v_readlane_b32 s82, v3, 6                                  // 000000005A7C: D2890052 00010D03
	s_and_b32 s82, s82, 0xffffff                               // 000000005A84: 8652FF52 00FFFFFF
	s_cmp_lt_u32 s82, s66                                      // 000000005A8C: BF0A4252
	s_cselect_b32 s20, s36, s60                                // 000000005A90: 85143C24
	v_readlane_b32 s82, v3, 7                                  // 000000005A94: D2890052 00010F03
	s_and_b32 s82, s82, 0xffffff                               // 000000005A9C: 8652FF52 00FFFFFF
	s_cmp_lt_u32 s82, s66                                      // 000000005AA4: BF0A4252
	s_cselect_b32 s21, s36, s60                                // 000000005AA8: 85153C24
	s_mov_b64 exec, s[20:21]                                   // 000000005AAC: BEFE0114
	global_atomic_add_f32 v6, v63, s[8:9] offset:8             // 000000005AB0: DD348008 00083F06
	global_atomic_add_f32 v6, v67, s[8:9] offset:264           // 000000005AB8: DD348108 00084306
	s_mov_b64 exec, s[36:37]                                   // 000000005AC0: BEFE0124
	v_mov_b32_e32 v6, v46                                      // 000000005AC4: 7E0C032E
	s_mov_b64 s[60:61], 0                                      // 000000005AC8: BEBC0180
	v_readlane_b32 s82, v3, 8                                  // 000000005ACC: D2890052 00011103
	s_and_b32 s82, s82, 0xffffff                               // 000000005AD4: 8652FF52 00FFFFFF
	s_cmp_lt_u32 s82, s66                                      // 000000005ADC: BF0A4252
	s_cselect_b32 s20, s36, s60                                // 000000005AE0: 85143C24
	v_readlane_b32 s82, v3, 9                                  // 000000005AE4: D2890052 00011303
	s_and_b32 s82, s82, 0xffffff                               // 000000005AEC: 8652FF52 00FFFFFF
	s_cmp_lt_u32 s82, s66                                      // 000000005AF4: BF0A4252
	s_cselect_b32 s21, s36, s60                                // 000000005AF8: 85153C24
	s_mov_b64 exec, s[20:21]                                   // 000000005AFC: BEFE0114
	global_atomic_add_f32 v6, v70, s[8:9] offset:8             // 000000005B00: DD348008 00084606
	global_atomic_add_f32 v6, v74, s[8:9] offset:264           // 000000005B08: DD348108 00084A06
	s_mov_b64 exec, s[36:37]                                   // 000000005B10: BEFE0124
	v_mov_b32_e32 v6, v47                                      // 000000005B14: 7E0C032F
	s_mov_b64 s[60:61], 0                                      // 000000005B18: BEBC0180
	v_readlane_b32 s82, v3, 10                                 // 000000005B1C: D2890052 00011503
	s_and_b32 s82, s82, 0xffffff                               // 000000005B24: 8652FF52 00FFFFFF
	s_cmp_lt_u32 s82, s66                                      // 000000005B2C: BF0A4252
	s_cselect_b32 s20, s36, s60                                // 000000005B30: 85143C24
	v_readlane_b32 s82, v3, 11                                 // 000000005B34: D2890052 00011703
	s_and_b32 s82, s82, 0xffffff                               // 000000005B3C: 8652FF52 00FFFFFF
	s_cmp_lt_u32 s82, s66                                      // 000000005B44: BF0A4252
	s_cselect_b32 s21, s36, s60                                // 000000005B48: 85153C24
	s_mov_b64 exec, s[20:21]                                   // 000000005B4C: BEFE0114
	global_atomic_add_f32 v6, v71, s[8:9] offset:8             // 000000005B50: DD348008 00084706
	global_atomic_add_f32 v6, v75, s[8:9] offset:264           // 000000005B58: DD348108 00084B06
	s_mov_b64 exec, s[36:37]                                   // 000000005B60: BEFE0124
	ds_write_b64 v20, v[76:77]                                 // 000000005B64: D89A0000 00004C14
	ds_write_b64 v20, v[80:81] offset:4352                     // 000000005B6C: D89A1100 00005014
	ds_write_b64 v20, v[84:85] offset:8704                     // 000000005B74: D89A2200 00005414
	ds_write_b64 v20, v[88:89] offset:2176                     // 000000005B7C: D89A0880 00005814
	ds_write_b64 v20, v[92:93] offset:6528                     // 000000005B84: D89A1980 00005C14
	ds_write_b64 v20, v[96:97] offset:10880                    // 000000005B8C: D89A2A80 00006014
	s_waitcnt lgkmcnt(0)                                       // 000000005B94: BF8CC07F
	s_barrier                                                  // 000000005B98: BF8A0000
	ds_read_b32 v76, v21                                       // 000000005B9C: D86C0000 4C000015
	ds_read_b32 v77, v21 offset:64                             // 000000005BA4: D86C0040 4D000015
	ds_read_b32 v80, v21 offset:2176                           // 000000005BAC: D86C0880 50000015
	ds_read_b32 v81, v21 offset:2240                           // 000000005BB4: D86C08C0 51000015
	ds_read_b32 v84, v21 offset:4352                           // 000000005BBC: D86C1100 54000015
	ds_read_b32 v85, v21 offset:4416                           // 000000005BC4: D86C1140 55000015
	ds_read_b32 v88, v21 offset:6528                           // 000000005BCC: D86C1980 58000015
	ds_read_b32 v89, v21 offset:6592                           // 000000005BD4: D86C19C0 59000015
	ds_read_b32 v92, v21 offset:8704                           // 000000005BDC: D86C2200 5C000015
	ds_read_b32 v93, v21 offset:8768                           // 000000005BE4: D86C2240 5D000015
	ds_read_b32 v96, v21 offset:10880                          // 000000005BEC: D86C2A80 60000015
	ds_read_b32 v97, v21 offset:10944                          // 000000005BF4: D86C2AC0 61000015
	s_mul_i32 s60, s65, 4                                      // 000000005BFC: 923C8441
	s_add_u32 s8, s60, s8                                      // 000000005C00: 8008083C
	s_addc_u32 s9, 0, s9                                       // 000000005C04: 82090980
	s_waitcnt lgkmcnt(0)                                       // 000000005C08: BF8CC07F
	v_mov_b32_e32 v7, 0                                        // 000000005C0C: 7E0E0280
	s_mov_b64 exec, s[36:37]                                   // 000000005C10: BEFE0124
	v_mov_b32_e32 v6, v42                                      // 000000005C14: 7E0C032A
	s_mov_b64 s[60:61], 0                                      // 000000005C18: BEBC0180
	v_readlane_b32 s82, v3, 0                                  // 000000005C1C: D2890052 00010103
	s_and_b32 s82, s82, 0xffffff                               // 000000005C24: 8652FF52 00FFFFFF
	s_cmp_lt_u32 s82, s66                                      // 000000005C2C: BF0A4252
	s_cselect_b32 s20, s36, s60                                // 000000005C30: 85143C24
	v_readlane_b32 s82, v3, 1                                  // 000000005C34: D2890052 00010303
	s_and_b32 s82, s82, 0xffffff                               // 000000005C3C: 8652FF52 00FFFFFF
	s_cmp_lt_u32 s82, s66                                      // 000000005C44: BF0A4252
	s_cselect_b32 s21, s36, s60                                // 000000005C48: 85153C24
	s_mov_b64 exec, s[20:21]                                   // 000000005C4C: BEFE0114
	global_atomic_add_f32 v6, v76, s[8:9]                      // 000000005C50: DD348000 00084C06
	global_atomic_add_f32 v6, v80, s[8:9] offset:256           // 000000005C58: DD348100 00085006
	s_mov_b64 exec, s[36:37]                                   // 000000005C60: BEFE0124
	v_mov_b32_e32 v6, v43                                      // 000000005C64: 7E0C032B
	s_mov_b64 s[60:61], 0                                      // 000000005C68: BEBC0180
	v_readlane_b32 s82, v3, 2                                  // 000000005C6C: D2890052 00010503
	s_and_b32 s82, s82, 0xffffff                               // 000000005C74: 8652FF52 00FFFFFF
	s_cmp_lt_u32 s82, s66                                      // 000000005C7C: BF0A4252
	s_cselect_b32 s20, s36, s60                                // 000000005C80: 85143C24
	v_readlane_b32 s82, v3, 3                                  // 000000005C84: D2890052 00010703
	s_and_b32 s82, s82, 0xffffff                               // 000000005C8C: 8652FF52 00FFFFFF
	s_cmp_lt_u32 s82, s66                                      // 000000005C94: BF0A4252
	s_cselect_b32 s21, s36, s60                                // 000000005C98: 85153C24
	s_mov_b64 exec, s[20:21]                                   // 000000005C9C: BEFE0114
	global_atomic_add_f32 v6, v77, s[8:9]                      // 000000005CA0: DD348000 00084D06
	global_atomic_add_f32 v6, v81, s[8:9] offset:256           // 000000005CA8: DD348100 00085106
	s_mov_b64 exec, s[36:37]                                   // 000000005CB0: BEFE0124
	v_mov_b32_e32 v6, v44                                      // 000000005CB4: 7E0C032C
	s_mov_b64 s[60:61], 0                                      // 000000005CB8: BEBC0180
	v_readlane_b32 s82, v3, 4                                  // 000000005CBC: D2890052 00010903
	s_and_b32 s82, s82, 0xffffff                               // 000000005CC4: 8652FF52 00FFFFFF
	s_cmp_lt_u32 s82, s66                                      // 000000005CCC: BF0A4252
	s_cselect_b32 s20, s36, s60                                // 000000005CD0: 85143C24
	v_readlane_b32 s82, v3, 5                                  // 000000005CD4: D2890052 00010B03
	s_and_b32 s82, s82, 0xffffff                               // 000000005CDC: 8652FF52 00FFFFFF
	s_cmp_lt_u32 s82, s66                                      // 000000005CE4: BF0A4252
	s_cselect_b32 s21, s36, s60                                // 000000005CE8: 85153C24
	s_mov_b64 exec, s[20:21]                                   // 000000005CEC: BEFE0114
	global_atomic_add_f32 v6, v84, s[8:9]                      // 000000005CF0: DD348000 00085406
	global_atomic_add_f32 v6, v88, s[8:9] offset:256           // 000000005CF8: DD348100 00085806
	s_mov_b64 exec, s[36:37]                                   // 000000005D00: BEFE0124
	v_mov_b32_e32 v6, v45                                      // 000000005D04: 7E0C032D
	s_mov_b64 s[60:61], 0                                      // 000000005D08: BEBC0180
	v_readlane_b32 s82, v3, 6                                  // 000000005D0C: D2890052 00010D03
	s_and_b32 s82, s82, 0xffffff                               // 000000005D14: 8652FF52 00FFFFFF
	s_cmp_lt_u32 s82, s66                                      // 000000005D1C: BF0A4252
	s_cselect_b32 s20, s36, s60                                // 000000005D20: 85143C24
	v_readlane_b32 s82, v3, 7                                  // 000000005D24: D2890052 00010F03
	s_and_b32 s82, s82, 0xffffff                               // 000000005D2C: 8652FF52 00FFFFFF
	s_cmp_lt_u32 s82, s66                                      // 000000005D34: BF0A4252
	s_cselect_b32 s21, s36, s60                                // 000000005D38: 85153C24
	s_mov_b64 exec, s[20:21]                                   // 000000005D3C: BEFE0114
	global_atomic_add_f32 v6, v85, s[8:9]                      // 000000005D40: DD348000 00085506
	global_atomic_add_f32 v6, v89, s[8:9] offset:256           // 000000005D48: DD348100 00085906
	s_mov_b64 exec, s[36:37]                                   // 000000005D50: BEFE0124
	v_mov_b32_e32 v6, v46                                      // 000000005D54: 7E0C032E
	s_mov_b64 s[60:61], 0                                      // 000000005D58: BEBC0180
	v_readlane_b32 s82, v3, 8                                  // 000000005D5C: D2890052 00011103
	s_and_b32 s82, s82, 0xffffff                               // 000000005D64: 8652FF52 00FFFFFF
	s_cmp_lt_u32 s82, s66                                      // 000000005D6C: BF0A4252
	s_cselect_b32 s20, s36, s60                                // 000000005D70: 85143C24
	v_readlane_b32 s82, v3, 9                                  // 000000005D74: D2890052 00011303
	s_and_b32 s82, s82, 0xffffff                               // 000000005D7C: 8652FF52 00FFFFFF
	s_cmp_lt_u32 s82, s66                                      // 000000005D84: BF0A4252
	s_cselect_b32 s21, s36, s60                                // 000000005D88: 85153C24
	s_mov_b64 exec, s[20:21]                                   // 000000005D8C: BEFE0114
	global_atomic_add_f32 v6, v92, s[8:9]                      // 000000005D90: DD348000 00085C06
	global_atomic_add_f32 v6, v96, s[8:9] offset:256           // 000000005D98: DD348100 00086006
	s_mov_b64 exec, s[36:37]                                   // 000000005DA0: BEFE0124
	v_mov_b32_e32 v6, v47                                      // 000000005DA4: 7E0C032F
	s_mov_b64 s[60:61], 0                                      // 000000005DA8: BEBC0180
	v_readlane_b32 s82, v3, 10                                 // 000000005DAC: D2890052 00011503
	s_and_b32 s82, s82, 0xffffff                               // 000000005DB4: 8652FF52 00FFFFFF
	s_cmp_lt_u32 s82, s66                                      // 000000005DBC: BF0A4252
	s_cselect_b32 s20, s36, s60                                // 000000005DC0: 85143C24
	v_readlane_b32 s82, v3, 11                                 // 000000005DC4: D2890052 00011703
	s_and_b32 s82, s82, 0xffffff                               // 000000005DCC: 8652FF52 00FFFFFF
	s_cmp_lt_u32 s82, s66                                      // 000000005DD4: BF0A4252
	s_cselect_b32 s21, s36, s60                                // 000000005DD8: 85153C24
	s_mov_b64 exec, s[20:21]                                   // 000000005DDC: BEFE0114
	global_atomic_add_f32 v6, v93, s[8:9]                      // 000000005DE0: DD348000 00085D06
	global_atomic_add_f32 v6, v97, s[8:9] offset:256           // 000000005DE8: DD348100 00086106
	s_mov_b64 exec, s[36:37]                                   // 000000005DF0: BEFE0124
	ds_write_b64 v20, v[78:79]                                 // 000000005DF4: D89A0000 00004E14
	ds_write_b64 v20, v[82:83] offset:4352                     // 000000005DFC: D89A1100 00005214
	ds_write_b64 v20, v[86:87] offset:8704                     // 000000005E04: D89A2200 00005614
	ds_write_b64 v20, v[90:91] offset:2176                     // 000000005E0C: D89A0880 00005A14
	ds_write_b64 v20, v[94:95] offset:6528                     // 000000005E14: D89A1980 00005E14
	ds_write_b64 v20, v[98:99] offset:10880                    // 000000005E1C: D89A2A80 00006214
	s_waitcnt lgkmcnt(0)                                       // 000000005E24: BF8CC07F
	s_barrier                                                  // 000000005E28: BF8A0000
	ds_read_b32 v78, v21                                       // 000000005E2C: D86C0000 4E000015
	ds_read_b32 v79, v21 offset:64                             // 000000005E34: D86C0040 4F000015
	ds_read_b32 v82, v21 offset:2176                           // 000000005E3C: D86C0880 52000015
	ds_read_b32 v83, v21 offset:2240                           // 000000005E44: D86C08C0 53000015
	ds_read_b32 v86, v21 offset:4352                           // 000000005E4C: D86C1100 56000015
	ds_read_b32 v87, v21 offset:4416                           // 000000005E54: D86C1140 57000015
	ds_read_b32 v90, v21 offset:6528                           // 000000005E5C: D86C1980 5A000015
	ds_read_b32 v91, v21 offset:6592                           // 000000005E64: D86C19C0 5B000015
	ds_read_b32 v94, v21 offset:8704                           // 000000005E6C: D86C2200 5E000015
	ds_read_b32 v95, v21 offset:8768                           // 000000005E74: D86C2240 5F000015
	ds_read_b32 v98, v21 offset:10880                          // 000000005E7C: D86C2A80 62000015
	ds_read_b32 v99, v21 offset:10944                          // 000000005E84: D86C2AC0 63000015
	s_waitcnt lgkmcnt(0)                                       // 000000005E8C: BF8CC07F
	v_mov_b32_e32 v7, 0                                        // 000000005E90: 7E0E0280
	s_mov_b64 exec, s[36:37]                                   // 000000005E94: BEFE0124
	v_mov_b32_e32 v6, v42                                      // 000000005E98: 7E0C032A
	s_mov_b64 s[60:61], 0                                      // 000000005E9C: BEBC0180
	v_readlane_b32 s82, v3, 0                                  // 000000005EA0: D2890052 00010103
	s_and_b32 s82, s82, 0xffffff                               // 000000005EA8: 8652FF52 00FFFFFF
	s_cmp_lt_u32 s82, s66                                      // 000000005EB0: BF0A4252
	s_cselect_b32 s20, s36, s60                                // 000000005EB4: 85143C24
	v_readlane_b32 s82, v3, 1                                  // 000000005EB8: D2890052 00010303
	s_and_b32 s82, s82, 0xffffff                               // 000000005EC0: 8652FF52 00FFFFFF
	s_cmp_lt_u32 s82, s66                                      // 000000005EC8: BF0A4252
	s_cselect_b32 s21, s36, s60                                // 000000005ECC: 85153C24
	s_mov_b64 exec, s[20:21]                                   // 000000005ED0: BEFE0114
	global_atomic_add_f32 v6, v78, s[8:9] offset:8             // 000000005ED4: DD348008 00084E06
	global_atomic_add_f32 v6, v82, s[8:9] offset:264           // 000000005EDC: DD348108 00085206
	s_mov_b64 exec, s[36:37]                                   // 000000005EE4: BEFE0124
	v_mov_b32_e32 v6, v43                                      // 000000005EE8: 7E0C032B
	s_mov_b64 s[60:61], 0                                      // 000000005EEC: BEBC0180
	v_readlane_b32 s82, v3, 2                                  // 000000005EF0: D2890052 00010503
	s_and_b32 s82, s82, 0xffffff                               // 000000005EF8: 8652FF52 00FFFFFF
	s_cmp_lt_u32 s82, s66                                      // 000000005F00: BF0A4252
	s_cselect_b32 s20, s36, s60                                // 000000005F04: 85143C24
	v_readlane_b32 s82, v3, 3                                  // 000000005F08: D2890052 00010703
	s_and_b32 s82, s82, 0xffffff                               // 000000005F10: 8652FF52 00FFFFFF
	s_cmp_lt_u32 s82, s66                                      // 000000005F18: BF0A4252
	s_cselect_b32 s21, s36, s60                                // 000000005F1C: 85153C24
	s_mov_b64 exec, s[20:21]                                   // 000000005F20: BEFE0114
	global_atomic_add_f32 v6, v79, s[8:9] offset:8             // 000000005F24: DD348008 00084F06
	global_atomic_add_f32 v6, v83, s[8:9] offset:264           // 000000005F2C: DD348108 00085306
	s_mov_b64 exec, s[36:37]                                   // 000000005F34: BEFE0124
	v_mov_b32_e32 v6, v44                                      // 000000005F38: 7E0C032C
	s_mov_b64 s[60:61], 0                                      // 000000005F3C: BEBC0180
	v_readlane_b32 s82, v3, 4                                  // 000000005F40: D2890052 00010903
	s_and_b32 s82, s82, 0xffffff                               // 000000005F48: 8652FF52 00FFFFFF
	s_cmp_lt_u32 s82, s66                                      // 000000005F50: BF0A4252
	s_cselect_b32 s20, s36, s60                                // 000000005F54: 85143C24
	v_readlane_b32 s82, v3, 5                                  // 000000005F58: D2890052 00010B03
	s_and_b32 s82, s82, 0xffffff                               // 000000005F60: 8652FF52 00FFFFFF
	s_cmp_lt_u32 s82, s66                                      // 000000005F68: BF0A4252
	s_cselect_b32 s21, s36, s60                                // 000000005F6C: 85153C24
	s_mov_b64 exec, s[20:21]                                   // 000000005F70: BEFE0114
	global_atomic_add_f32 v6, v86, s[8:9] offset:8             // 000000005F74: DD348008 00085606
	global_atomic_add_f32 v6, v90, s[8:9] offset:264           // 000000005F7C: DD348108 00085A06
	s_mov_b64 exec, s[36:37]                                   // 000000005F84: BEFE0124
	v_mov_b32_e32 v6, v45                                      // 000000005F88: 7E0C032D
	s_mov_b64 s[60:61], 0                                      // 000000005F8C: BEBC0180
	v_readlane_b32 s82, v3, 6                                  // 000000005F90: D2890052 00010D03
	s_and_b32 s82, s82, 0xffffff                               // 000000005F98: 8652FF52 00FFFFFF
	s_cmp_lt_u32 s82, s66                                      // 000000005FA0: BF0A4252
	s_cselect_b32 s20, s36, s60                                // 000000005FA4: 85143C24
	v_readlane_b32 s82, v3, 7                                  // 000000005FA8: D2890052 00010F03
	s_and_b32 s82, s82, 0xffffff                               // 000000005FB0: 8652FF52 00FFFFFF
	s_cmp_lt_u32 s82, s66                                      // 000000005FB8: BF0A4252
	s_cselect_b32 s21, s36, s60                                // 000000005FBC: 85153C24
	s_mov_b64 exec, s[20:21]                                   // 000000005FC0: BEFE0114
	global_atomic_add_f32 v6, v87, s[8:9] offset:8             // 000000005FC4: DD348008 00085706
	global_atomic_add_f32 v6, v91, s[8:9] offset:264           // 000000005FCC: DD348108 00085B06
	s_mov_b64 exec, s[36:37]                                   // 000000005FD4: BEFE0124
	v_mov_b32_e32 v6, v46                                      // 000000005FD8: 7E0C032E
	s_mov_b64 s[60:61], 0                                      // 000000005FDC: BEBC0180
	v_readlane_b32 s82, v3, 8                                  // 000000005FE0: D2890052 00011103
	s_and_b32 s82, s82, 0xffffff                               // 000000005FE8: 8652FF52 00FFFFFF
	s_cmp_lt_u32 s82, s66                                      // 000000005FF0: BF0A4252
	s_cselect_b32 s20, s36, s60                                // 000000005FF4: 85143C24
	v_readlane_b32 s82, v3, 9                                  // 000000005FF8: D2890052 00011303
	s_and_b32 s82, s82, 0xffffff                               // 000000006000: 8652FF52 00FFFFFF
	s_cmp_lt_u32 s82, s66                                      // 000000006008: BF0A4252
	s_cselect_b32 s21, s36, s60                                // 00000000600C: 85153C24
	s_mov_b64 exec, s[20:21]                                   // 000000006010: BEFE0114
	global_atomic_add_f32 v6, v94, s[8:9] offset:8             // 000000006014: DD348008 00085E06
	global_atomic_add_f32 v6, v98, s[8:9] offset:264           // 00000000601C: DD348108 00086206
	s_mov_b64 exec, s[36:37]                                   // 000000006024: BEFE0124
	v_mov_b32_e32 v6, v47                                      // 000000006028: 7E0C032F
	s_mov_b64 s[60:61], 0                                      // 00000000602C: BEBC0180
	v_readlane_b32 s82, v3, 10                                 // 000000006030: D2890052 00011503
	s_and_b32 s82, s82, 0xffffff                               // 000000006038: 8652FF52 00FFFFFF
	s_cmp_lt_u32 s82, s66                                      // 000000006040: BF0A4252
	s_cselect_b32 s20, s36, s60                                // 000000006044: 85143C24
	v_readlane_b32 s82, v3, 11                                 // 000000006048: D2890052 00011703
	s_and_b32 s82, s82, 0xffffff                               // 000000006050: 8652FF52 00FFFFFF
	s_cmp_lt_u32 s82, s66                                      // 000000006058: BF0A4252
	s_cselect_b32 s21, s36, s60                                // 00000000605C: 85153C24
	s_mov_b64 exec, s[20:21]                                   // 000000006060: BEFE0114
	global_atomic_add_f32 v6, v95, s[8:9] offset:8             // 000000006064: DD348008 00085F06
	global_atomic_add_f32 v6, v99, s[8:9] offset:264           // 00000000606C: DD348108 00086306
	s_mov_b64 exec, s[36:37]                                   // 000000006074: BEFE0124
	s_branch label_1924                                        // 000000006078: BF820B82

000000000000607c <label_0DA2>:
	s_waitcnt vmcnt(10) lgkmcnt(0)                             // 00000000607C: BF8C007A
	v_mfma_i32_16x16x32_i8 v[52:55], a[48:49], a[0:1], v[52:55]// 000000006080: D3D70034 1CD20130
	buffer_load_dwordx4 a[80:83], v48, s[24:27], 0 offen       // 000000006088: E05C1000 80865030
	v_mfma_i32_16x16x32_i8 v[52:55], a[50:51], a[2:3], v[52:55]// 000000006090: D3D70034 1CD20532
	v_mfma_i32_16x16x32_i8 v[52:55], a[52:53], a[4:5], v[52:55]// 000000006098: D3D70034 1CD20934
	v_mfma_i32_16x16x32_i8 v[52:55], a[54:55], a[6:7], v[52:55]// 0000000060A0: D3D70034 1CD20D36
	v_mfma_i32_16x16x32_i8 v[64:67], a[56:57], a[0:1], v[64:67]// 0000000060A8: D3D70040 1D020138
	buffer_load_dwordx4 a[84:87], v48, s[24:27], 0 offen offset:1024// 0000000060B0: E05C1400 80865430
	v_mfma_i32_16x16x32_i8 v[64:67], a[58:59], a[2:3], v[64:67]// 0000000060B8: D3D70040 1D02053A
	v_mfma_i32_16x16x32_i8 v[64:67], a[60:61], a[4:5], v[64:67]// 0000000060C0: D3D70040 1D02093C
	v_mfma_i32_16x16x32_i8 v[64:67], a[62:63], a[6:7], v[64:67]// 0000000060C8: D3D70040 1D020D3E
	v_mfma_i32_16x16x32_i8 v[56:59], a[48:49], a[8:9], v[56:59]// 0000000060D0: D3D70038 1CE21130
	buffer_load_dwordx4 a[88:91], v49, s[24:27], 0 offen       // 0000000060D8: E05C1000 80865831
	v_mfma_i32_16x16x32_i8 v[56:59], a[50:51], a[10:11], v[56:59]// 0000000060E0: D3D70038 1CE21532
	v_mfma_i32_16x16x32_i8 v[56:59], a[52:53], a[12:13], v[56:59]// 0000000060E8: D3D70038 1CE21934
	v_mfma_i32_16x16x32_i8 v[56:59], a[54:55], a[14:15], v[56:59]// 0000000060F0: D3D70038 1CE21D36
	v_mfma_i32_16x16x32_i8 v[68:71], a[56:57], a[8:9], v[68:71]// 0000000060F8: D3D70044 1D121138
	buffer_load_dwordx4 a[92:95], v49, s[24:27], 0 offen offset:1024// 000000006100: E05C1400 80865C31
	buffer_load_dword v42, s[20:23], 0 offen lds               // 000000006108: E0511000 8005002A
	s_add_u32 m0, 0x100, s50                                   // 000000006110: 807C32FF 00000100
	v_mfma_i32_16x16x32_i8 v[68:71], a[58:59], a[10:11], v[68:71]// 000000006118: D3D70044 1D12153A
	v_mfma_i32_16x16x32_i8 v[68:71], a[60:61], a[12:13], v[68:71]// 000000006120: D3D70044 1D12193C
	buffer_load_dword v43, s[20:23], 0 offen lds               // 000000006128: E0511000 8005002B
	s_add_u32 m0, 0x200, s50                                   // 000000006130: 807C32FF 00000200
	v_mfma_i32_16x16x32_i8 v[68:71], a[62:63], a[14:15], v[68:71]// 000000006138: D3D70044 1D121D3E
	v_mfma_i32_16x16x32_i8 v[60:63], a[48:49], a[16:17], v[60:63]// 000000006140: D3D7003C 1CF22130
	buffer_load_dword v44, s[20:23], 0 offen lds               // 000000006148: E0511000 8005002C
	s_add_u32 m0, 0x300, s50                                   // 000000006150: 807C32FF 00000300
	v_mfma_i32_16x16x32_i8 v[60:63], a[50:51], a[18:19], v[60:63]// 000000006158: D3D7003C 1CF22532
	v_mfma_i32_16x16x32_i8 v[60:63], a[52:53], a[20:21], v[60:63]// 000000006160: D3D7003C 1CF22934
	buffer_load_dword v45, s[20:23], 0 offen lds               // 000000006168: E0511000 8005002D
	s_add_u32 m0, 0x400, s50                                   // 000000006170: 807C32FF 00000400
	v_mfma_i32_16x16x32_i8 v[60:63], a[54:55], a[22:23], v[60:63]// 000000006178: D3D7003C 1CF22D36
	v_mfma_i32_16x16x32_i8 v[72:75], a[56:57], a[16:17], v[72:75]// 000000006180: D3D70048 1D222138
	buffer_load_dword v46, s[20:23], 0 offen lds               // 000000006188: E0511000 8005002E
	s_add_u32 m0, 0x500, s50                                   // 000000006190: 807C32FF 00000500
	v_mfma_i32_16x16x32_i8 v[72:75], a[58:59], a[18:19], v[72:75]// 000000006198: D3D70048 1D22253A
	v_mfma_i32_16x16x32_i8 v[72:75], a[60:61], a[20:21], v[72:75]// 0000000061A0: D3D70048 1D22293C
	buffer_load_dword v47, s[20:23], 0 offen lds               // 0000000061A8: E0511000 8005002F
	s_add_u32 m0, 0, s48                                       // 0000000061B0: 807C3080
	v_mfma_i32_16x16x32_i8 v[72:75], a[62:63], a[22:23], v[72:75]// 0000000061B4: D3D70048 1D222D3E
	s_waitcnt vmcnt(10)                                        // 0000000061BC: BF8C0F7A
	s_barrier                                                  // 0000000061C0: BF8A0000
	v_mfma_i32_16x16x32_i8 v[76:79], a[64:65], a[0:1], v[76:79]// 0000000061C4: D3D7004C 1D320140
	buffer_load_dwordx4 a[48:51], v48, s[84:87], 0 offen       // 0000000061CC: E05C1000 80953030
	v_mfma_i32_16x16x32_i8 v[76:79], a[66:67], a[2:3], v[76:79]// 0000000061D4: D3D7004C 1D320542
	v_mfma_i32_16x16x32_i8 v[76:79], a[68:69], a[4:5], v[76:79]// 0000000061DC: D3D7004C 1D320944
	ds_read_b128 a[24:27], v2 offset:6272                      // 0000000061E4: DBFE1880 18000002
	ds_read_b128 a[28:31], v2 offset:6336                      // 0000000061EC: DBFE18C0 1C000002
	v_mfma_i32_16x16x32_i8 v[76:79], a[70:71], a[6:7], v[76:79]// 0000000061F4: D3D7004C 1D320D46
	v_mfma_i32_16x16x32_i8 v[88:91], a[72:73], a[0:1], v[88:91]// 0000000061FC: D3D70058 1D620148
	buffer_load_dwordx4 a[52:55], v48, s[84:87], 0 offen offset:1024// 000000006204: E05C1400 80953430
	v_mfma_i32_16x16x32_i8 v[88:91], a[74:75], a[2:3], v[88:91]// 00000000620C: D3D70058 1D62054A
	v_mfma_i32_16x16x32_i8 v[88:91], a[76:77], a[4:5], v[88:91]// 000000006214: D3D70058 1D62094C
	ds_read_b128 a[32:35], v2 offset:6784                      // 00000000621C: DBFE1A80 20000002
	ds_read_b128 a[36:39], v2 offset:6848                      // 000000006224: DBFE1AC0 24000002
	v_mfma_i32_16x16x32_i8 v[88:91], a[78:79], a[6:7], v[88:91]// 00000000622C: D3D70058 1D620D4E
	v_mfma_i32_16x16x32_i8 v[80:83], a[64:65], a[8:9], v[80:83]// 000000006234: D3D70050 1D421140
	buffer_load_dwordx4 a[56:59], v49, s[84:87], 0 offen       // 00000000623C: E05C1000 80953831
	v_mfma_i32_16x16x32_i8 v[80:83], a[66:67], a[10:11], v[80:83]// 000000006244: D3D70050 1D421542
	v_mfma_i32_16x16x32_i8 v[80:83], a[68:69], a[12:13], v[80:83]// 00000000624C: D3D70050 1D421944
	ds_read_b128 a[40:43], v2 offset:7296                      // 000000006254: DBFE1C80 28000002
	ds_read_b128 a[44:47], v2 offset:7360                      // 00000000625C: DBFE1CC0 2C000002
	v_mfma_i32_16x16x32_i8 v[80:83], a[70:71], a[14:15], v[80:83]// 000000006264: D3D70050 1D421D46
	v_mfma_i32_16x16x32_i8 v[92:95], a[72:73], a[8:9], v[92:95]// 00000000626C: D3D7005C 1D721148
	buffer_load_dwordx4 a[60:63], v49, s[84:87], 0 offen offset:1024// 000000006274: E05C1400 80953C31
	v_mfma_i32_16x16x32_i8 v[92:95], a[74:75], a[10:11], v[92:95]// 00000000627C: D3D7005C 1D72154A
	v_mfma_i32_16x16x32_i8 v[92:95], a[76:77], a[12:13], v[92:95]// 000000006284: D3D7005C 1D72194C
	v_mfma_i32_16x16x32_i8 v[92:95], a[78:79], a[14:15], v[92:95]// 00000000628C: D3D7005C 1D721D4E
	v_mfma_i32_16x16x32_i8 v[84:87], a[64:65], a[16:17], v[84:87]// 000000006294: D3D70054 1D522140
	s_add_u32 s60, 0x180, s80                                  // 00000000629C: 803C50FF 00000180
	s_cmp_lt_u32 s60, s81                                      // 0000000062A4: BF0A513C
	s_cselect_b32 s57, s57, 0                                  // 0000000062A8: 85398039
	v_mfma_i32_16x16x32_i8 v[84:87], a[66:67], a[18:19], v[84:87]// 0000000062AC: D3D70054 1D522542
	s_add_u32 s60, 0x100, s80                                  // 0000000062B4: 803C50FF 00000100
	s_cmp_lt_u32 s60, s81                                      // 0000000062BC: BF0A513C
	s_cselect_b32 s58, s58, 0                                  // 0000000062C0: 853A803A
	v_mfma_i32_16x16x32_i8 v[84:87], a[68:69], a[20:21], v[84:87]// 0000000062C4: D3D70054 1D522944
	s_add_u32 s60, 0x100, s80                                  // 0000000062CC: 803C50FF 00000100
	s_cmp_lt_u32 s60, s81                                      // 0000000062D4: BF0A513C
	s_cselect_b32 s83, s83, 0                                  // 0000000062D8: 85538053
	v_mfma_i32_16x16x32_i8 v[84:87], a[70:71], a[22:23], v[84:87]// 0000000062DC: D3D70054 1D522D46
	s_add_u32 s24, s58, s24                                    // 0000000062E4: 8018183A
	s_addc_u32 s25, 0, s25                                     // 0000000062E8: 82191980
	v_mfma_i32_16x16x32_i8 v[96:99], a[72:73], a[16:17], v[96:99]// 0000000062EC: D3D70060 1D822148
	s_add_u32 s20, s57, s20                                    // 0000000062F4: 80141439
	s_addc_u32 s21, 0, s21                                     // 0000000062F8: 82151580
	v_mfma_i32_16x16x32_i8 v[96:99], a[74:75], a[18:19], v[96:99]// 0000000062FC: D3D70060 1D82254A
	s_add_u32 s84, s83, s84                                    // 000000006304: 80545453
	s_addc_u32 s85, 0, s85                                     // 000000006308: 82555580
	v_mfma_i32_16x16x32_i8 v[96:99], a[76:77], a[20:21], v[96:99]// 00000000630C: D3D70060 1D82294C
	v_mfma_i32_16x16x32_i8 v[96:99], a[78:79], a[22:23], v[96:99]// 000000006314: D3D70060 1D822D4E
	s_addk_i32 s80, 0x80                                       // 00000000631C: B7500080
	s_cmp_lt_i32 s80, s81                                      // 000000006320: BF045150
	s_cbranch_scc0 label_11A5                                  // 000000006324: BF840358
	s_waitcnt vmcnt(10) lgkmcnt(0)                             // 000000006328: BF8C007A
	v_mfma_i32_16x16x32_i8 v[52:55], a[80:81], a[24:25], v[52:55]// 00000000632C: D3D70034 1CD23150
	buffer_load_dwordx4 a[64:67], v48, s[24:27], 0 offen       // 000000006334: E05C1000 80864030
	v_mfma_i32_16x16x32_i8 v[52:55], a[82:83], a[26:27], v[52:55]// 00000000633C: D3D70034 1CD23552
	v_mfma_i32_16x16x32_i8 v[52:55], a[84:85], a[28:29], v[52:55]// 000000006344: D3D70034 1CD23954
	v_mfma_i32_16x16x32_i8 v[52:55], a[86:87], a[30:31], v[52:55]// 00000000634C: D3D70034 1CD23D56
	v_mfma_i32_16x16x32_i8 v[64:67], a[88:89], a[24:25], v[64:67]// 000000006354: D3D70040 1D023158
	buffer_load_dwordx4 a[68:71], v48, s[24:27], 0 offen offset:1024// 00000000635C: E05C1400 80864430
	v_mfma_i32_16x16x32_i8 v[64:67], a[90:91], a[26:27], v[64:67]// 000000006364: D3D70040 1D02355A
	v_mfma_i32_16x16x32_i8 v[64:67], a[92:93], a[28:29], v[64:67]// 00000000636C: D3D70040 1D02395C
	v_mfma_i32_16x16x32_i8 v[64:67], a[94:95], a[30:31], v[64:67]// 000000006374: D3D70040 1D023D5E
	v_mfma_i32_16x16x32_i8 v[56:59], a[80:81], a[32:33], v[56:59]// 00000000637C: D3D70038 1CE24150
	buffer_load_dwordx4 a[72:75], v49, s[24:27], 0 offen       // 000000006384: E05C1000 80864831
	v_mfma_i32_16x16x32_i8 v[56:59], a[82:83], a[34:35], v[56:59]// 00000000638C: D3D70038 1CE24552
	v_mfma_i32_16x16x32_i8 v[56:59], a[84:85], a[36:37], v[56:59]// 000000006394: D3D70038 1CE24954
	v_mfma_i32_16x16x32_i8 v[56:59], a[86:87], a[38:39], v[56:59]// 00000000639C: D3D70038 1CE24D56
	v_mfma_i32_16x16x32_i8 v[68:71], a[88:89], a[32:33], v[68:71]// 0000000063A4: D3D70044 1D124158
	buffer_load_dwordx4 a[76:79], v49, s[24:27], 0 offen offset:1024// 0000000063AC: E05C1400 80864C31
	buffer_load_dword v42, s[20:23], 0 offen lds               // 0000000063B4: E0511000 8005002A
	s_add_u32 m0, 0x100, s48                                   // 0000000063BC: 807C30FF 00000100
	v_mfma_i32_16x16x32_i8 v[68:71], a[90:91], a[34:35], v[68:71]// 0000000063C4: D3D70044 1D12455A
	v_mfma_i32_16x16x32_i8 v[68:71], a[92:93], a[36:37], v[68:71]// 0000000063CC: D3D70044 1D12495C
	buffer_load_dword v43, s[20:23], 0 offen lds               // 0000000063D4: E0511000 8005002B
	s_add_u32 m0, 0x200, s48                                   // 0000000063DC: 807C30FF 00000200
	v_mfma_i32_16x16x32_i8 v[68:71], a[94:95], a[38:39], v[68:71]// 0000000063E4: D3D70044 1D124D5E
	v_mfma_i32_16x16x32_i8 v[60:63], a[80:81], a[40:41], v[60:63]// 0000000063EC: D3D7003C 1CF25150
	buffer_load_dword v44, s[20:23], 0 offen lds               // 0000000063F4: E0511000 8005002C
	s_add_u32 m0, 0x300, s48                                   // 0000000063FC: 807C30FF 00000300
	v_mfma_i32_16x16x32_i8 v[60:63], a[82:83], a[42:43], v[60:63]// 000000006404: D3D7003C 1CF25552
	v_mfma_i32_16x16x32_i8 v[60:63], a[84:85], a[44:45], v[60:63]// 00000000640C: D3D7003C 1CF25954
	buffer_load_dword v45, s[20:23], 0 offen lds               // 000000006414: E0511000 8005002D
	s_add_u32 m0, 0x400, s48                                   // 00000000641C: 807C30FF 00000400
	v_mfma_i32_16x16x32_i8 v[60:63], a[86:87], a[46:47], v[60:63]// 000000006424: D3D7003C 1CF25D56
	v_mfma_i32_16x16x32_i8 v[72:75], a[88:89], a[40:41], v[72:75]// 00000000642C: D3D70048 1D225158
	buffer_load_dword v46, s[20:23], 0 offen lds               // 000000006434: E0511000 8005002E
	s_add_u32 m0, 0x500, s48                                   // 00000000643C: 807C30FF 00000500
	v_mfma_i32_16x16x32_i8 v[72:75], a[90:91], a[42:43], v[72:75]// 000000006444: D3D70048 1D22555A
	v_mfma_i32_16x16x32_i8 v[72:75], a[92:93], a[44:45], v[72:75]// 00000000644C: D3D70048 1D22595C
	buffer_load_dword v47, s[20:23], 0 offen lds               // 000000006454: E0511000 8005002F
	s_add_u32 m0, 0, s49                                       // 00000000645C: 807C3180
	v_mfma_i32_16x16x32_i8 v[72:75], a[94:95], a[46:47], v[72:75]// 000000006460: D3D70048 1D225D5E
	s_waitcnt vmcnt(10)                                        // 000000006468: BF8C0F7A
	s_barrier                                                  // 00000000646C: BF8A0000
	v_mfma_i32_16x16x32_i8 v[76:79], a[48:49], a[24:25], v[76:79]// 000000006470: D3D7004C 1D323130
	buffer_load_dwordx4 a[80:83], v48, s[84:87], 0 offen       // 000000006478: E05C1000 80955030
	v_mfma_i32_16x16x32_i8 v[76:79], a[50:51], a[26:27], v[76:79]// 000000006480: D3D7004C 1D323532
	v_mfma_i32_16x16x32_i8 v[76:79], a[52:53], a[28:29], v[76:79]// 000000006488: D3D7004C 1D323934
	ds_read_b128 a[0:3], v2 offset:12544                       // 000000006490: DBFE3100 00000002
	ds_read_b128 a[4:7], v2 offset:12608                       // 000000006498: DBFE3140 04000002
	v_mfma_i32_16x16x32_i8 v[76:79], a[54:55], a[30:31], v[76:79]// 0000000064A0: D3D7004C 1D323D36
	v_mfma_i32_16x16x32_i8 v[88:91], a[56:57], a[24:25], v[88:91]// 0000000064A8: D3D70058 1D623138
	buffer_load_dwordx4 a[84:87], v48, s[84:87], 0 offen offset:1024// 0000000064B0: E05C1400 80955430
	v_mfma_i32_16x16x32_i8 v[88:91], a[58:59], a[26:27], v[88:91]// 0000000064B8: D3D70058 1D62353A
	v_mfma_i32_16x16x32_i8 v[88:91], a[60:61], a[28:29], v[88:91]// 0000000064C0: D3D70058 1D62393C
	ds_read_b128 a[8:11], v2 offset:13056                      // 0000000064C8: DBFE3300 08000002
	ds_read_b128 a[12:15], v2 offset:13120                     // 0000000064D0: DBFE3340 0C000002
	v_mfma_i32_16x16x32_i8 v[88:91], a[62:63], a[30:31], v[88:91]// 0000000064D8: D3D70058 1D623D3E
	v_mfma_i32_16x16x32_i8 v[80:83], a[48:49], a[32:33], v[80:83]// 0000000064E0: D3D70050 1D424130
	buffer_load_dwordx4 a[88:91], v49, s[84:87], 0 offen       // 0000000064E8: E05C1000 80955831
	v_mfma_i32_16x16x32_i8 v[80:83], a[50:51], a[34:35], v[80:83]// 0000000064F0: D3D70050 1D424532
	v_mfma_i32_16x16x32_i8 v[80:83], a[52:53], a[36:37], v[80:83]// 0000000064F8: D3D70050 1D424934
	ds_read_b128 a[16:19], v2 offset:13568                     // 000000006500: DBFE3500 10000002
	ds_read_b128 a[20:23], v2 offset:13632                     // 000000006508: DBFE3540 14000002
	v_mfma_i32_16x16x32_i8 v[80:83], a[54:55], a[38:39], v[80:83]// 000000006510: D3D70050 1D424D36
	v_mfma_i32_16x16x32_i8 v[92:95], a[56:57], a[32:33], v[92:95]// 000000006518: D3D7005C 1D724138
	buffer_load_dwordx4 a[92:95], v49, s[84:87], 0 offen offset:1024// 000000006520: E05C1400 80955C31
	v_mfma_i32_16x16x32_i8 v[92:95], a[58:59], a[34:35], v[92:95]// 000000006528: D3D7005C 1D72453A
	v_mfma_i32_16x16x32_i8 v[92:95], a[60:61], a[36:37], v[92:95]// 000000006530: D3D7005C 1D72493C
	v_mfma_i32_16x16x32_i8 v[92:95], a[62:63], a[38:39], v[92:95]// 000000006538: D3D7005C 1D724D3E
	v_mfma_i32_16x16x32_i8 v[84:87], a[48:49], a[40:41], v[84:87]// 000000006540: D3D70054 1D525130
	s_add_u32 s60, 0x180, s80                                  // 000000006548: 803C50FF 00000180
	s_cmp_lt_u32 s60, s81                                      // 000000006550: BF0A513C
	s_cselect_b32 s57, s57, 0                                  // 000000006554: 85398039
	v_mfma_i32_16x16x32_i8 v[84:87], a[50:51], a[42:43], v[84:87]// 000000006558: D3D70054 1D525532
	s_add_u32 s60, 0x100, s80                                  // 000000006560: 803C50FF 00000100
	s_cmp_lt_u32 s60, s81                                      // 000000006568: BF0A513C
	s_cselect_b32 s58, s58, 0                                  // 00000000656C: 853A803A
	v_mfma_i32_16x16x32_i8 v[84:87], a[52:53], a[44:45], v[84:87]// 000000006570: D3D70054 1D525934
	s_add_u32 s60, 0x100, s80                                  // 000000006578: 803C50FF 00000100
	s_cmp_lt_u32 s60, s81                                      // 000000006580: BF0A513C
	s_cselect_b32 s83, s83, 0                                  // 000000006584: 85538053
	v_mfma_i32_16x16x32_i8 v[84:87], a[54:55], a[46:47], v[84:87]// 000000006588: D3D70054 1D525D36
	s_add_u32 s24, s58, s24                                    // 000000006590: 8018183A
	s_addc_u32 s25, 0, s25                                     // 000000006594: 82191980
	v_mfma_i32_16x16x32_i8 v[96:99], a[56:57], a[40:41], v[96:99]// 000000006598: D3D70060 1D825138
	s_add_u32 s20, s57, s20                                    // 0000000065A0: 80141439
	s_addc_u32 s21, 0, s21                                     // 0000000065A4: 82151580
	v_mfma_i32_16x16x32_i8 v[96:99], a[58:59], a[42:43], v[96:99]// 0000000065A8: D3D70060 1D82553A
	s_add_u32 s84, s83, s84                                    // 0000000065B0: 80545453
	s_addc_u32 s85, 0, s85                                     // 0000000065B4: 82555580
	v_mfma_i32_16x16x32_i8 v[96:99], a[60:61], a[44:45], v[96:99]// 0000000065B8: D3D70060 1D82593C
	v_mfma_i32_16x16x32_i8 v[96:99], a[62:63], a[46:47], v[96:99]// 0000000065C0: D3D70060 1D825D3E
	s_addk_i32 s80, 0x80                                       // 0000000065C8: B7500080
	s_cmp_lt_i32 s80, s81                                      // 0000000065CC: BF045150
	s_cbranch_scc0 label_11A5                                  // 0000000065D0: BF8402AD
	s_waitcnt vmcnt(10) lgkmcnt(0)                             // 0000000065D4: BF8C007A
	v_mfma_i32_16x16x32_i8 v[52:55], a[64:65], a[0:1], v[52:55]// 0000000065D8: D3D70034 1CD20140
	buffer_load_dwordx4 a[48:51], v48, s[24:27], 0 offen       // 0000000065E0: E05C1000 80863030
	v_mfma_i32_16x16x32_i8 v[52:55], a[66:67], a[2:3], v[52:55]// 0000000065E8: D3D70034 1CD20542
	v_mfma_i32_16x16x32_i8 v[52:55], a[68:69], a[4:5], v[52:55]// 0000000065F0: D3D70034 1CD20944
	v_mfma_i32_16x16x32_i8 v[52:55], a[70:71], a[6:7], v[52:55]// 0000000065F8: D3D70034 1CD20D46
	v_mfma_i32_16x16x32_i8 v[64:67], a[72:73], a[0:1], v[64:67]// 000000006600: D3D70040 1D020148
	buffer_load_dwordx4 a[52:55], v48, s[24:27], 0 offen offset:1024// 000000006608: E05C1400 80863430
	v_mfma_i32_16x16x32_i8 v[64:67], a[74:75], a[2:3], v[64:67]// 000000006610: D3D70040 1D02054A
	v_mfma_i32_16x16x32_i8 v[64:67], a[76:77], a[4:5], v[64:67]// 000000006618: D3D70040 1D02094C
	v_mfma_i32_16x16x32_i8 v[64:67], a[78:79], a[6:7], v[64:67]// 000000006620: D3D70040 1D020D4E
	v_mfma_i32_16x16x32_i8 v[56:59], a[64:65], a[8:9], v[56:59]// 000000006628: D3D70038 1CE21140
	buffer_load_dwordx4 a[56:59], v49, s[24:27], 0 offen       // 000000006630: E05C1000 80863831
	v_mfma_i32_16x16x32_i8 v[56:59], a[66:67], a[10:11], v[56:59]// 000000006638: D3D70038 1CE21542
	v_mfma_i32_16x16x32_i8 v[56:59], a[68:69], a[12:13], v[56:59]// 000000006640: D3D70038 1CE21944
	v_mfma_i32_16x16x32_i8 v[56:59], a[70:71], a[14:15], v[56:59]// 000000006648: D3D70038 1CE21D46
	v_mfma_i32_16x16x32_i8 v[68:71], a[72:73], a[8:9], v[68:71]// 000000006650: D3D70044 1D121148
	buffer_load_dwordx4 a[60:63], v49, s[24:27], 0 offen offset:1024// 000000006658: E05C1400 80863C31
	buffer_load_dword v42, s[20:23], 0 offen lds               // 000000006660: E0511000 8005002A
	s_add_u32 m0, 0x100, s49                                   // 000000006668: 807C31FF 00000100
	v_mfma_i32_16x16x32_i8 v[68:71], a[74:75], a[10:11], v[68:71]// 000000006670: D3D70044 1D12154A
	v_mfma_i32_16x16x32_i8 v[68:71], a[76:77], a[12:13], v[68:71]// 000000006678: D3D70044 1D12194C
	buffer_load_dword v43, s[20:23], 0 offen lds               // 000000006680: E0511000 8005002B
	s_add_u32 m0, 0x200, s49                                   // 000000006688: 807C31FF 00000200
	v_mfma_i32_16x16x32_i8 v[68:71], a[78:79], a[14:15], v[68:71]// 000000006690: D3D70044 1D121D4E
	v_mfma_i32_16x16x32_i8 v[60:63], a[64:65], a[16:17], v[60:63]// 000000006698: D3D7003C 1CF22140
	buffer_load_dword v44, s[20:23], 0 offen lds               // 0000000066A0: E0511000 8005002C
	s_add_u32 m0, 0x300, s49                                   // 0000000066A8: 807C31FF 00000300
	v_mfma_i32_16x16x32_i8 v[60:63], a[66:67], a[18:19], v[60:63]// 0000000066B0: D3D7003C 1CF22542
	v_mfma_i32_16x16x32_i8 v[60:63], a[68:69], a[20:21], v[60:63]// 0000000066B8: D3D7003C 1CF22944
	buffer_load_dword v45, s[20:23], 0 offen lds               // 0000000066C0: E0511000 8005002D
	s_add_u32 m0, 0x400, s49                                   // 0000000066C8: 807C31FF 00000400
	v_mfma_i32_16x16x32_i8 v[60:63], a[70:71], a[22:23], v[60:63]// 0000000066D0: D3D7003C 1CF22D46
	v_mfma_i32_16x16x32_i8 v[72:75], a[72:73], a[16:17], v[72:75]// 0000000066D8: D3D70048 1D222148
	buffer_load_dword v46, s[20:23], 0 offen lds               // 0000000066E0: E0511000 8005002E
	s_add_u32 m0, 0x500, s49                                   // 0000000066E8: 807C31FF 00000500
	v_mfma_i32_16x16x32_i8 v[72:75], a[74:75], a[18:19], v[72:75]// 0000000066F0: D3D70048 1D22254A
	v_mfma_i32_16x16x32_i8 v[72:75], a[76:77], a[20:21], v[72:75]// 0000000066F8: D3D70048 1D22294C
	buffer_load_dword v47, s[20:23], 0 offen lds               // 000000006700: E0511000 8005002F
	s_add_u32 m0, 0, s50                                       // 000000006708: 807C3280
	v_mfma_i32_16x16x32_i8 v[72:75], a[78:79], a[22:23], v[72:75]// 00000000670C: D3D70048 1D222D4E
	s_waitcnt vmcnt(10)                                        // 000000006714: BF8C0F7A
	s_barrier                                                  // 000000006718: BF8A0000
	v_mfma_i32_16x16x32_i8 v[76:79], a[80:81], a[0:1], v[76:79]// 00000000671C: D3D7004C 1D320150
	buffer_load_dwordx4 a[64:67], v48, s[84:87], 0 offen       // 000000006724: E05C1000 80954030
	v_mfma_i32_16x16x32_i8 v[76:79], a[82:83], a[2:3], v[76:79]// 00000000672C: D3D7004C 1D320552
	v_mfma_i32_16x16x32_i8 v[76:79], a[84:85], a[4:5], v[76:79]// 000000006734: D3D7004C 1D320954
	ds_read_b128 a[24:27], v2                                  // 00000000673C: DBFE0000 18000002
	ds_read_b128 a[28:31], v2 offset:64                        // 000000006744: DBFE0040 1C000002
	v_mfma_i32_16x16x32_i8 v[76:79], a[86:87], a[6:7], v[76:79]// 00000000674C: D3D7004C 1D320D56
	v_mfma_i32_16x16x32_i8 v[88:91], a[88:89], a[0:1], v[88:91]// 000000006754: D3D70058 1D620158
	buffer_load_dwordx4 a[68:71], v48, s[84:87], 0 offen offset:1024// 00000000675C: E05C1400 80954430
	v_mfma_i32_16x16x32_i8 v[88:91], a[90:91], a[2:3], v[88:91]// 000000006764: D3D70058 1D62055A
	v_mfma_i32_16x16x32_i8 v[88:91], a[92:93], a[4:5], v[88:91]// 00000000676C: D3D70058 1D62095C
	ds_read_b128 a[32:35], v2 offset:512                       // 000000006774: DBFE0200 20000002
	ds_read_b128 a[36:39], v2 offset:576                       // 00000000677C: DBFE0240 24000002
	v_mfma_i32_16x16x32_i8 v[88:91], a[94:95], a[6:7], v[88:91]// 000000006784: D3D70058 1D620D5E
	v_mfma_i32_16x16x32_i8 v[80:83], a[80:81], a[8:9], v[80:83]// 00000000678C: D3D70050 1D421150
	buffer_load_dwordx4 a[72:75], v49, s[84:87], 0 offen       // 000000006794: E05C1000 80954831
	v_mfma_i32_16x16x32_i8 v[80:83], a[82:83], a[10:11], v[80:83]// 00000000679C: D3D70050 1D421552
	v_mfma_i32_16x16x32_i8 v[80:83], a[84:85], a[12:13], v[80:83]// 0000000067A4: D3D70050 1D421954
	ds_read_b128 a[40:43], v2 offset:1024                      // 0000000067AC: DBFE0400 28000002
	ds_read_b128 a[44:47], v2 offset:1088                      // 0000000067B4: DBFE0440 2C000002
	v_mfma_i32_16x16x32_i8 v[80:83], a[86:87], a[14:15], v[80:83]// 0000000067BC: D3D70050 1D421D56
	v_mfma_i32_16x16x32_i8 v[92:95], a[88:89], a[8:9], v[92:95]// 0000000067C4: D3D7005C 1D721158
	buffer_load_dwordx4 a[76:79], v49, s[84:87], 0 offen offset:1024// 0000000067CC: E05C1400 80954C31
	v_mfma_i32_16x16x32_i8 v[92:95], a[90:91], a[10:11], v[92:95]// 0000000067D4: D3D7005C 1D72155A
	v_mfma_i32_16x16x32_i8 v[92:95], a[92:93], a[12:13], v[92:95]// 0000000067DC: D3D7005C 1D72195C
	v_mfma_i32_16x16x32_i8 v[92:95], a[94:95], a[14:15], v[92:95]// 0000000067E4: D3D7005C 1D721D5E
	v_mfma_i32_16x16x32_i8 v[84:87], a[80:81], a[16:17], v[84:87]// 0000000067EC: D3D70054 1D522150
	s_add_u32 s60, 0x180, s80                                  // 0000000067F4: 803C50FF 00000180
	s_cmp_lt_u32 s60, s81                                      // 0000000067FC: BF0A513C
	s_cselect_b32 s57, s57, 0                                  // 000000006800: 85398039
	v_mfma_i32_16x16x32_i8 v[84:87], a[82:83], a[18:19], v[84:87]// 000000006804: D3D70054 1D522552
	s_add_u32 s60, 0x100, s80                                  // 00000000680C: 803C50FF 00000100
	s_cmp_lt_u32 s60, s81                                      // 000000006814: BF0A513C
	s_cselect_b32 s58, s58, 0                                  // 000000006818: 853A803A
	v_mfma_i32_16x16x32_i8 v[84:87], a[84:85], a[20:21], v[84:87]// 00000000681C: D3D70054 1D522954
	s_add_u32 s60, 0x100, s80                                  // 000000006824: 803C50FF 00000100
	s_cmp_lt_u32 s60, s81                                      // 00000000682C: BF0A513C
	s_cselect_b32 s83, s83, 0                                  // 000000006830: 85538053
	v_mfma_i32_16x16x32_i8 v[84:87], a[86:87], a[22:23], v[84:87]// 000000006834: D3D70054 1D522D56
	s_add_u32 s24, s58, s24                                    // 00000000683C: 8018183A
	s_addc_u32 s25, 0, s25                                     // 000000006840: 82191980
	v_mfma_i32_16x16x32_i8 v[96:99], a[88:89], a[16:17], v[96:99]// 000000006844: D3D70060 1D822158
	s_add_u32 s20, s57, s20                                    // 00000000684C: 80141439
	s_addc_u32 s21, 0, s21                                     // 000000006850: 82151580
	v_mfma_i32_16x16x32_i8 v[96:99], a[90:91], a[18:19], v[96:99]// 000000006854: D3D70060 1D82255A
	s_add_u32 s84, s83, s84                                    // 00000000685C: 80545453
	s_addc_u32 s85, 0, s85                                     // 000000006860: 82555580
	v_mfma_i32_16x16x32_i8 v[96:99], a[92:93], a[20:21], v[96:99]// 000000006864: D3D70060 1D82295C
	v_mfma_i32_16x16x32_i8 v[96:99], a[94:95], a[22:23], v[96:99]// 00000000686C: D3D70060 1D822D5E
	s_addk_i32 s80, 0x80                                       // 000000006874: B7500080
	s_cmp_lt_i32 s80, s81                                      // 000000006878: BF045150
	s_cbranch_scc0 label_11A5                                  // 00000000687C: BF840202
	s_waitcnt vmcnt(10) lgkmcnt(0)                             // 000000006880: BF8C007A
	v_mfma_i32_16x16x32_i8 v[52:55], a[48:49], a[24:25], v[52:55]// 000000006884: D3D70034 1CD23130
	buffer_load_dwordx4 a[80:83], v48, s[24:27], 0 offen       // 00000000688C: E05C1000 80865030
	v_mfma_i32_16x16x32_i8 v[52:55], a[50:51], a[26:27], v[52:55]// 000000006894: D3D70034 1CD23532
	v_mfma_i32_16x16x32_i8 v[52:55], a[52:53], a[28:29], v[52:55]// 00000000689C: D3D70034 1CD23934
	v_mfma_i32_16x16x32_i8 v[52:55], a[54:55], a[30:31], v[52:55]// 0000000068A4: D3D70034 1CD23D36
	v_mfma_i32_16x16x32_i8 v[64:67], a[56:57], a[24:25], v[64:67]// 0000000068AC: D3D70040 1D023138
	buffer_load_dwordx4 a[84:87], v48, s[24:27], 0 offen offset:1024// 0000000068B4: E05C1400 80865430
	v_mfma_i32_16x16x32_i8 v[64:67], a[58:59], a[26:27], v[64:67]// 0000000068BC: D3D70040 1D02353A
	v_mfma_i32_16x16x32_i8 v[64:67], a[60:61], a[28:29], v[64:67]// 0000000068C4: D3D70040 1D02393C
	v_mfma_i32_16x16x32_i8 v[64:67], a[62:63], a[30:31], v[64:67]// 0000000068CC: D3D70040 1D023D3E
	v_mfma_i32_16x16x32_i8 v[56:59], a[48:49], a[32:33], v[56:59]// 0000000068D4: D3D70038 1CE24130
	buffer_load_dwordx4 a[88:91], v49, s[24:27], 0 offen       // 0000000068DC: E05C1000 80865831
	v_mfma_i32_16x16x32_i8 v[56:59], a[50:51], a[34:35], v[56:59]// 0000000068E4: D3D70038 1CE24532
	v_mfma_i32_16x16x32_i8 v[56:59], a[52:53], a[36:37], v[56:59]// 0000000068EC: D3D70038 1CE24934
	v_mfma_i32_16x16x32_i8 v[56:59], a[54:55], a[38:39], v[56:59]// 0000000068F4: D3D70038 1CE24D36
	v_mfma_i32_16x16x32_i8 v[68:71], a[56:57], a[32:33], v[68:71]// 0000000068FC: D3D70044 1D124138
	buffer_load_dwordx4 a[92:95], v49, s[24:27], 0 offen offset:1024// 000000006904: E05C1400 80865C31
	buffer_load_dword v42, s[20:23], 0 offen lds               // 00000000690C: E0511000 8005002A
	s_add_u32 m0, 0x100, s50                                   // 000000006914: 807C32FF 00000100
	v_mfma_i32_16x16x32_i8 v[68:71], a[58:59], a[34:35], v[68:71]// 00000000691C: D3D70044 1D12453A
	v_mfma_i32_16x16x32_i8 v[68:71], a[60:61], a[36:37], v[68:71]// 000000006924: D3D70044 1D12493C
	buffer_load_dword v43, s[20:23], 0 offen lds               // 00000000692C: E0511000 8005002B
	s_add_u32 m0, 0x200, s50                                   // 000000006934: 807C32FF 00000200
	v_mfma_i32_16x16x32_i8 v[68:71], a[62:63], a[38:39], v[68:71]// 00000000693C: D3D70044 1D124D3E
	v_mfma_i32_16x16x32_i8 v[60:63], a[48:49], a[40:41], v[60:63]// 000000006944: D3D7003C 1CF25130
	buffer_load_dword v44, s[20:23], 0 offen lds               // 00000000694C: E0511000 8005002C
	s_add_u32 m0, 0x300, s50                                   // 000000006954: 807C32FF 00000300
	v_mfma_i32_16x16x32_i8 v[60:63], a[50:51], a[42:43], v[60:63]// 00000000695C: D3D7003C 1CF25532
	v_mfma_i32_16x16x32_i8 v[60:63], a[52:53], a[44:45], v[60:63]// 000000006964: D3D7003C 1CF25934
	buffer_load_dword v45, s[20:23], 0 offen lds               // 00000000696C: E0511000 8005002D
	s_add_u32 m0, 0x400, s50                                   // 000000006974: 807C32FF 00000400
	v_mfma_i32_16x16x32_i8 v[60:63], a[54:55], a[46:47], v[60:63]// 00000000697C: D3D7003C 1CF25D36
	v_mfma_i32_16x16x32_i8 v[72:75], a[56:57], a[40:41], v[72:75]// 000000006984: D3D70048 1D225138
	buffer_load_dword v46, s[20:23], 0 offen lds               // 00000000698C: E0511000 8005002E
	s_add_u32 m0, 0x500, s50                                   // 000000006994: 807C32FF 00000500
	v_mfma_i32_16x16x32_i8 v[72:75], a[58:59], a[42:43], v[72:75]// 00000000699C: D3D70048 1D22553A
	v_mfma_i32_16x16x32_i8 v[72:75], a[60:61], a[44:45], v[72:75]// 0000000069A4: D3D70048 1D22593C
	buffer_load_dword v47, s[20:23], 0 offen lds               // 0000000069AC: E0511000 8005002F
	s_add_u32 m0, 0, s48                                       // 0000000069B4: 807C3080
	v_mfma_i32_16x16x32_i8 v[72:75], a[62:63], a[46:47], v[72:75]// 0000000069B8: D3D70048 1D225D3E
	s_waitcnt vmcnt(10)                                        // 0000000069C0: BF8C0F7A
	s_barrier                                                  // 0000000069C4: BF8A0000
	v_mfma_i32_16x16x32_i8 v[76:79], a[64:65], a[24:25], v[76:79]// 0000000069C8: D3D7004C 1D323140
	buffer_load_dwordx4 a[48:51], v48, s[84:87], 0 offen       // 0000000069D0: E05C1000 80953030
	v_mfma_i32_16x16x32_i8 v[76:79], a[66:67], a[26:27], v[76:79]// 0000000069D8: D3D7004C 1D323542
	v_mfma_i32_16x16x32_i8 v[76:79], a[68:69], a[28:29], v[76:79]// 0000000069E0: D3D7004C 1D323944
	ds_read_b128 a[0:3], v2 offset:6272                        // 0000000069E8: DBFE1880 00000002
	ds_read_b128 a[4:7], v2 offset:6336                        // 0000000069F0: DBFE18C0 04000002
	v_mfma_i32_16x16x32_i8 v[76:79], a[70:71], a[30:31], v[76:79]// 0000000069F8: D3D7004C 1D323D46
	v_mfma_i32_16x16x32_i8 v[88:91], a[72:73], a[24:25], v[88:91]// 000000006A00: D3D70058 1D623148
	buffer_load_dwordx4 a[52:55], v48, s[84:87], 0 offen offset:1024// 000000006A08: E05C1400 80953430
	v_mfma_i32_16x16x32_i8 v[88:91], a[74:75], a[26:27], v[88:91]// 000000006A10: D3D70058 1D62354A
	v_mfma_i32_16x16x32_i8 v[88:91], a[76:77], a[28:29], v[88:91]// 000000006A18: D3D70058 1D62394C
	ds_read_b128 a[8:11], v2 offset:6784                       // 000000006A20: DBFE1A80 08000002
	ds_read_b128 a[12:15], v2 offset:6848                      // 000000006A28: DBFE1AC0 0C000002
	v_mfma_i32_16x16x32_i8 v[88:91], a[78:79], a[30:31], v[88:91]// 000000006A30: D3D70058 1D623D4E
	v_mfma_i32_16x16x32_i8 v[80:83], a[64:65], a[32:33], v[80:83]// 000000006A38: D3D70050 1D424140
	buffer_load_dwordx4 a[56:59], v49, s[84:87], 0 offen       // 000000006A40: E05C1000 80953831
	v_mfma_i32_16x16x32_i8 v[80:83], a[66:67], a[34:35], v[80:83]// 000000006A48: D3D70050 1D424542
	v_mfma_i32_16x16x32_i8 v[80:83], a[68:69], a[36:37], v[80:83]// 000000006A50: D3D70050 1D424944
	ds_read_b128 a[16:19], v2 offset:7296                      // 000000006A58: DBFE1C80 10000002
	ds_read_b128 a[20:23], v2 offset:7360                      // 000000006A60: DBFE1CC0 14000002
	v_mfma_i32_16x16x32_i8 v[80:83], a[70:71], a[38:39], v[80:83]// 000000006A68: D3D70050 1D424D46
	v_mfma_i32_16x16x32_i8 v[92:95], a[72:73], a[32:33], v[92:95]// 000000006A70: D3D7005C 1D724148
	buffer_load_dwordx4 a[60:63], v49, s[84:87], 0 offen offset:1024// 000000006A78: E05C1400 80953C31
	v_mfma_i32_16x16x32_i8 v[92:95], a[74:75], a[34:35], v[92:95]// 000000006A80: D3D7005C 1D72454A
	v_mfma_i32_16x16x32_i8 v[92:95], a[76:77], a[36:37], v[92:95]// 000000006A88: D3D7005C 1D72494C
	v_mfma_i32_16x16x32_i8 v[92:95], a[78:79], a[38:39], v[92:95]// 000000006A90: D3D7005C 1D724D4E
	v_mfma_i32_16x16x32_i8 v[84:87], a[64:65], a[40:41], v[84:87]// 000000006A98: D3D70054 1D525140
	s_add_u32 s60, 0x180, s80                                  // 000000006AA0: 803C50FF 00000180
	s_cmp_lt_u32 s60, s81                                      // 000000006AA8: BF0A513C
	s_cselect_b32 s57, s57, 0                                  // 000000006AAC: 85398039
	v_mfma_i32_16x16x32_i8 v[84:87], a[66:67], a[42:43], v[84:87]// 000000006AB0: D3D70054 1D525542
	s_add_u32 s60, 0x100, s80                                  // 000000006AB8: 803C50FF 00000100
	s_cmp_lt_u32 s60, s81                                      // 000000006AC0: BF0A513C
	s_cselect_b32 s58, s58, 0                                  // 000000006AC4: 853A803A
	v_mfma_i32_16x16x32_i8 v[84:87], a[68:69], a[44:45], v[84:87]// 000000006AC8: D3D70054 1D525944
	s_add_u32 s60, 0x100, s80                                  // 000000006AD0: 803C50FF 00000100
	s_cmp_lt_u32 s60, s81                                      // 000000006AD8: BF0A513C
	s_cselect_b32 s83, s83, 0                                  // 000000006ADC: 85538053
	v_mfma_i32_16x16x32_i8 v[84:87], a[70:71], a[46:47], v[84:87]// 000000006AE0: D3D70054 1D525D46
	s_add_u32 s24, s58, s24                                    // 000000006AE8: 8018183A
	s_addc_u32 s25, 0, s25                                     // 000000006AEC: 82191980
	v_mfma_i32_16x16x32_i8 v[96:99], a[72:73], a[40:41], v[96:99]// 000000006AF0: D3D70060 1D825148
	s_add_u32 s20, s57, s20                                    // 000000006AF8: 80141439
	s_addc_u32 s21, 0, s21                                     // 000000006AFC: 82151580
	v_mfma_i32_16x16x32_i8 v[96:99], a[74:75], a[42:43], v[96:99]// 000000006B00: D3D70060 1D82554A
	s_add_u32 s84, s83, s84                                    // 000000006B08: 80545453
	s_addc_u32 s85, 0, s85                                     // 000000006B0C: 82555580
	v_mfma_i32_16x16x32_i8 v[96:99], a[76:77], a[44:45], v[96:99]// 000000006B10: D3D70060 1D82594C
	v_mfma_i32_16x16x32_i8 v[96:99], a[78:79], a[46:47], v[96:99]// 000000006B18: D3D70060 1D825D4E
	s_addk_i32 s80, 0x80                                       // 000000006B20: B7500080
	s_cmp_lt_i32 s80, s81                                      // 000000006B24: BF045150
	s_cbranch_scc0 label_11A5                                  // 000000006B28: BF840157
	s_waitcnt vmcnt(10) lgkmcnt(0)                             // 000000006B2C: BF8C007A
	v_mfma_i32_16x16x32_i8 v[52:55], a[80:81], a[0:1], v[52:55]// 000000006B30: D3D70034 1CD20150
	buffer_load_dwordx4 a[64:67], v48, s[24:27], 0 offen       // 000000006B38: E05C1000 80864030
	v_mfma_i32_16x16x32_i8 v[52:55], a[82:83], a[2:3], v[52:55]// 000000006B40: D3D70034 1CD20552
	v_mfma_i32_16x16x32_i8 v[52:55], a[84:85], a[4:5], v[52:55]// 000000006B48: D3D70034 1CD20954
	v_mfma_i32_16x16x32_i8 v[52:55], a[86:87], a[6:7], v[52:55]// 000000006B50: D3D70034 1CD20D56
	v_mfma_i32_16x16x32_i8 v[64:67], a[88:89], a[0:1], v[64:67]// 000000006B58: D3D70040 1D020158
	buffer_load_dwordx4 a[68:71], v48, s[24:27], 0 offen offset:1024// 000000006B60: E05C1400 80864430
	v_mfma_i32_16x16x32_i8 v[64:67], a[90:91], a[2:3], v[64:67]// 000000006B68: D3D70040 1D02055A
	v_mfma_i32_16x16x32_i8 v[64:67], a[92:93], a[4:5], v[64:67]// 000000006B70: D3D70040 1D02095C
	v_mfma_i32_16x16x32_i8 v[64:67], a[94:95], a[6:7], v[64:67]// 000000006B78: D3D70040 1D020D5E
	v_mfma_i32_16x16x32_i8 v[56:59], a[80:81], a[8:9], v[56:59]// 000000006B80: D3D70038 1CE21150
	buffer_load_dwordx4 a[72:75], v49, s[24:27], 0 offen       // 000000006B88: E05C1000 80864831
	v_mfma_i32_16x16x32_i8 v[56:59], a[82:83], a[10:11], v[56:59]// 000000006B90: D3D70038 1CE21552
	v_mfma_i32_16x16x32_i8 v[56:59], a[84:85], a[12:13], v[56:59]// 000000006B98: D3D70038 1CE21954
	v_mfma_i32_16x16x32_i8 v[56:59], a[86:87], a[14:15], v[56:59]// 000000006BA0: D3D70038 1CE21D56
	v_mfma_i32_16x16x32_i8 v[68:71], a[88:89], a[8:9], v[68:71]// 000000006BA8: D3D70044 1D121158
	buffer_load_dwordx4 a[76:79], v49, s[24:27], 0 offen offset:1024// 000000006BB0: E05C1400 80864C31
	buffer_load_dword v42, s[20:23], 0 offen lds               // 000000006BB8: E0511000 8005002A
	s_add_u32 m0, 0x100, s48                                   // 000000006BC0: 807C30FF 00000100
	v_mfma_i32_16x16x32_i8 v[68:71], a[90:91], a[10:11], v[68:71]// 000000006BC8: D3D70044 1D12155A
	v_mfma_i32_16x16x32_i8 v[68:71], a[92:93], a[12:13], v[68:71]// 000000006BD0: D3D70044 1D12195C
	buffer_load_dword v43, s[20:23], 0 offen lds               // 000000006BD8: E0511000 8005002B
	s_add_u32 m0, 0x200, s48                                   // 000000006BE0: 807C30FF 00000200
	v_mfma_i32_16x16x32_i8 v[68:71], a[94:95], a[14:15], v[68:71]// 000000006BE8: D3D70044 1D121D5E
	v_mfma_i32_16x16x32_i8 v[60:63], a[80:81], a[16:17], v[60:63]// 000000006BF0: D3D7003C 1CF22150
	buffer_load_dword v44, s[20:23], 0 offen lds               // 000000006BF8: E0511000 8005002C
	s_add_u32 m0, 0x300, s48                                   // 000000006C00: 807C30FF 00000300
	v_mfma_i32_16x16x32_i8 v[60:63], a[82:83], a[18:19], v[60:63]// 000000006C08: D3D7003C 1CF22552
	v_mfma_i32_16x16x32_i8 v[60:63], a[84:85], a[20:21], v[60:63]// 000000006C10: D3D7003C 1CF22954
	buffer_load_dword v45, s[20:23], 0 offen lds               // 000000006C18: E0511000 8005002D
	s_add_u32 m0, 0x400, s48                                   // 000000006C20: 807C30FF 00000400
	v_mfma_i32_16x16x32_i8 v[60:63], a[86:87], a[22:23], v[60:63]// 000000006C28: D3D7003C 1CF22D56
	v_mfma_i32_16x16x32_i8 v[72:75], a[88:89], a[16:17], v[72:75]// 000000006C30: D3D70048 1D222158
	buffer_load_dword v46, s[20:23], 0 offen lds               // 000000006C38: E0511000 8005002E
	s_add_u32 m0, 0x500, s48                                   // 000000006C40: 807C30FF 00000500
	v_mfma_i32_16x16x32_i8 v[72:75], a[90:91], a[18:19], v[72:75]// 000000006C48: D3D70048 1D22255A
	v_mfma_i32_16x16x32_i8 v[72:75], a[92:93], a[20:21], v[72:75]// 000000006C50: D3D70048 1D22295C
	buffer_load_dword v47, s[20:23], 0 offen lds               // 000000006C58: E0511000 8005002F
	s_add_u32 m0, 0, s49                                       // 000000006C60: 807C3180
	v_mfma_i32_16x16x32_i8 v[72:75], a[94:95], a[22:23], v[72:75]// 000000006C64: D3D70048 1D222D5E
	s_waitcnt vmcnt(10)                                        // 000000006C6C: BF8C0F7A
	s_barrier                                                  // 000000006C70: BF8A0000
	v_mfma_i32_16x16x32_i8 v[76:79], a[48:49], a[0:1], v[76:79]// 000000006C74: D3D7004C 1D320130
	buffer_load_dwordx4 a[80:83], v48, s[84:87], 0 offen       // 000000006C7C: E05C1000 80955030
	v_mfma_i32_16x16x32_i8 v[76:79], a[50:51], a[2:3], v[76:79]// 000000006C84: D3D7004C 1D320532
	v_mfma_i32_16x16x32_i8 v[76:79], a[52:53], a[4:5], v[76:79]// 000000006C8C: D3D7004C 1D320934
	ds_read_b128 a[24:27], v2 offset:12544                     // 000000006C94: DBFE3100 18000002
	ds_read_b128 a[28:31], v2 offset:12608                     // 000000006C9C: DBFE3140 1C000002
	v_mfma_i32_16x16x32_i8 v[76:79], a[54:55], a[6:7], v[76:79]// 000000006CA4: D3D7004C 1D320D36
	v_mfma_i32_16x16x32_i8 v[88:91], a[56:57], a[0:1], v[88:91]// 000000006CAC: D3D70058 1D620138
	buffer_load_dwordx4 a[84:87], v48, s[84:87], 0 offen offset:1024// 000000006CB4: E05C1400 80955430
	v_mfma_i32_16x16x32_i8 v[88:91], a[58:59], a[2:3], v[88:91]// 000000006CBC: D3D70058 1D62053A
	v_mfma_i32_16x16x32_i8 v[88:91], a[60:61], a[4:5], v[88:91]// 000000006CC4: D3D70058 1D62093C
	ds_read_b128 a[32:35], v2 offset:13056                     // 000000006CCC: DBFE3300 20000002
	ds_read_b128 a[36:39], v2 offset:13120                     // 000000006CD4: DBFE3340 24000002
	v_mfma_i32_16x16x32_i8 v[88:91], a[62:63], a[6:7], v[88:91]// 000000006CDC: D3D70058 1D620D3E
	v_mfma_i32_16x16x32_i8 v[80:83], a[48:49], a[8:9], v[80:83]// 000000006CE4: D3D70050 1D421130
	buffer_load_dwordx4 a[88:91], v49, s[84:87], 0 offen       // 000000006CEC: E05C1000 80955831
	v_mfma_i32_16x16x32_i8 v[80:83], a[50:51], a[10:11], v[80:83]// 000000006CF4: D3D70050 1D421532
	v_mfma_i32_16x16x32_i8 v[80:83], a[52:53], a[12:13], v[80:83]// 000000006CFC: D3D70050 1D421934
	ds_read_b128 a[40:43], v2 offset:13568                     // 000000006D04: DBFE3500 28000002
	ds_read_b128 a[44:47], v2 offset:13632                     // 000000006D0C: DBFE3540 2C000002
	v_mfma_i32_16x16x32_i8 v[80:83], a[54:55], a[14:15], v[80:83]// 000000006D14: D3D70050 1D421D36
	v_mfma_i32_16x16x32_i8 v[92:95], a[56:57], a[8:9], v[92:95]// 000000006D1C: D3D7005C 1D721138
	buffer_load_dwordx4 a[92:95], v49, s[84:87], 0 offen offset:1024// 000000006D24: E05C1400 80955C31
	v_mfma_i32_16x16x32_i8 v[92:95], a[58:59], a[10:11], v[92:95]// 000000006D2C: D3D7005C 1D72153A
	v_mfma_i32_16x16x32_i8 v[92:95], a[60:61], a[12:13], v[92:95]// 000000006D34: D3D7005C 1D72193C
	v_mfma_i32_16x16x32_i8 v[92:95], a[62:63], a[14:15], v[92:95]// 000000006D3C: D3D7005C 1D721D3E
	v_mfma_i32_16x16x32_i8 v[84:87], a[48:49], a[16:17], v[84:87]// 000000006D44: D3D70054 1D522130
	s_add_u32 s60, 0x180, s80                                  // 000000006D4C: 803C50FF 00000180
	s_cmp_lt_u32 s60, s81                                      // 000000006D54: BF0A513C
	s_cselect_b32 s57, s57, 0                                  // 000000006D58: 85398039
	v_mfma_i32_16x16x32_i8 v[84:87], a[50:51], a[18:19], v[84:87]// 000000006D5C: D3D70054 1D522532
	s_add_u32 s60, 0x100, s80                                  // 000000006D64: 803C50FF 00000100
	s_cmp_lt_u32 s60, s81                                      // 000000006D6C: BF0A513C
	s_cselect_b32 s58, s58, 0                                  // 000000006D70: 853A803A
	v_mfma_i32_16x16x32_i8 v[84:87], a[52:53], a[20:21], v[84:87]// 000000006D74: D3D70054 1D522934
	s_add_u32 s60, 0x100, s80                                  // 000000006D7C: 803C50FF 00000100
	s_cmp_lt_u32 s60, s81                                      // 000000006D84: BF0A513C
	s_cselect_b32 s83, s83, 0                                  // 000000006D88: 85538053
	v_mfma_i32_16x16x32_i8 v[84:87], a[54:55], a[22:23], v[84:87]// 000000006D8C: D3D70054 1D522D36
	s_add_u32 s24, s58, s24                                    // 000000006D94: 8018183A
	s_addc_u32 s25, 0, s25                                     // 000000006D98: 82191980
	v_mfma_i32_16x16x32_i8 v[96:99], a[56:57], a[16:17], v[96:99]// 000000006D9C: D3D70060 1D822138
	s_add_u32 s20, s57, s20                                    // 000000006DA4: 80141439
	s_addc_u32 s21, 0, s21                                     // 000000006DA8: 82151580
	v_mfma_i32_16x16x32_i8 v[96:99], a[58:59], a[18:19], v[96:99]// 000000006DAC: D3D70060 1D82253A
	s_add_u32 s84, s83, s84                                    // 000000006DB4: 80545453
	s_addc_u32 s85, 0, s85                                     // 000000006DB8: 82555580
	v_mfma_i32_16x16x32_i8 v[96:99], a[60:61], a[20:21], v[96:99]// 000000006DBC: D3D70060 1D82293C
	v_mfma_i32_16x16x32_i8 v[96:99], a[62:63], a[22:23], v[96:99]// 000000006DC4: D3D70060 1D822D3E
	s_addk_i32 s80, 0x80                                       // 000000006DCC: B7500080
	s_cmp_lt_i32 s80, s81                                      // 000000006DD0: BF045150
	s_cbranch_scc0 label_11A5                                  // 000000006DD4: BF8400AC
	s_waitcnt vmcnt(10) lgkmcnt(0)                             // 000000006DD8: BF8C007A
	v_mfma_i32_16x16x32_i8 v[52:55], a[64:65], a[24:25], v[52:55]// 000000006DDC: D3D70034 1CD23140
	buffer_load_dwordx4 a[48:51], v48, s[24:27], 0 offen       // 000000006DE4: E05C1000 80863030
	v_mfma_i32_16x16x32_i8 v[52:55], a[66:67], a[26:27], v[52:55]// 000000006DEC: D3D70034 1CD23542
	v_mfma_i32_16x16x32_i8 v[52:55], a[68:69], a[28:29], v[52:55]// 000000006DF4: D3D70034 1CD23944
	v_mfma_i32_16x16x32_i8 v[52:55], a[70:71], a[30:31], v[52:55]// 000000006DFC: D3D70034 1CD23D46
	v_mfma_i32_16x16x32_i8 v[64:67], a[72:73], a[24:25], v[64:67]// 000000006E04: D3D70040 1D023148
	buffer_load_dwordx4 a[52:55], v48, s[24:27], 0 offen offset:1024// 000000006E0C: E05C1400 80863430
	v_mfma_i32_16x16x32_i8 v[64:67], a[74:75], a[26:27], v[64:67]// 000000006E14: D3D70040 1D02354A
	v_mfma_i32_16x16x32_i8 v[64:67], a[76:77], a[28:29], v[64:67]// 000000006E1C: D3D70040 1D02394C
	v_mfma_i32_16x16x32_i8 v[64:67], a[78:79], a[30:31], v[64:67]// 000000006E24: D3D70040 1D023D4E
	v_mfma_i32_16x16x32_i8 v[56:59], a[64:65], a[32:33], v[56:59]// 000000006E2C: D3D70038 1CE24140
	buffer_load_dwordx4 a[56:59], v49, s[24:27], 0 offen       // 000000006E34: E05C1000 80863831
	v_mfma_i32_16x16x32_i8 v[56:59], a[66:67], a[34:35], v[56:59]// 000000006E3C: D3D70038 1CE24542
	v_mfma_i32_16x16x32_i8 v[56:59], a[68:69], a[36:37], v[56:59]// 000000006E44: D3D70038 1CE24944
	v_mfma_i32_16x16x32_i8 v[56:59], a[70:71], a[38:39], v[56:59]// 000000006E4C: D3D70038 1CE24D46
	v_mfma_i32_16x16x32_i8 v[68:71], a[72:73], a[32:33], v[68:71]// 000000006E54: D3D70044 1D124148
	buffer_load_dwordx4 a[60:63], v49, s[24:27], 0 offen offset:1024// 000000006E5C: E05C1400 80863C31
	buffer_load_dword v42, s[20:23], 0 offen lds               // 000000006E64: E0511000 8005002A
	s_add_u32 m0, 0x100, s49                                   // 000000006E6C: 807C31FF 00000100
	v_mfma_i32_16x16x32_i8 v[68:71], a[74:75], a[34:35], v[68:71]// 000000006E74: D3D70044 1D12454A
	v_mfma_i32_16x16x32_i8 v[68:71], a[76:77], a[36:37], v[68:71]// 000000006E7C: D3D70044 1D12494C
	buffer_load_dword v43, s[20:23], 0 offen lds               // 000000006E84: E0511000 8005002B
	s_add_u32 m0, 0x200, s49                                   // 000000006E8C: 807C31FF 00000200
	v_mfma_i32_16x16x32_i8 v[68:71], a[78:79], a[38:39], v[68:71]// 000000006E94: D3D70044 1D124D4E
	v_mfma_i32_16x16x32_i8 v[60:63], a[64:65], a[40:41], v[60:63]// 000000006E9C: D3D7003C 1CF25140
	buffer_load_dword v44, s[20:23], 0 offen lds               // 000000006EA4: E0511000 8005002C
	s_add_u32 m0, 0x300, s49                                   // 000000006EAC: 807C31FF 00000300
	v_mfma_i32_16x16x32_i8 v[60:63], a[66:67], a[42:43], v[60:63]// 000000006EB4: D3D7003C 1CF25542
	v_mfma_i32_16x16x32_i8 v[60:63], a[68:69], a[44:45], v[60:63]// 000000006EBC: D3D7003C 1CF25944
	buffer_load_dword v45, s[20:23], 0 offen lds               // 000000006EC4: E0511000 8005002D
	s_add_u32 m0, 0x400, s49                                   // 000000006ECC: 807C31FF 00000400
	v_mfma_i32_16x16x32_i8 v[60:63], a[70:71], a[46:47], v[60:63]// 000000006ED4: D3D7003C 1CF25D46
	v_mfma_i32_16x16x32_i8 v[72:75], a[72:73], a[40:41], v[72:75]// 000000006EDC: D3D70048 1D225148
	buffer_load_dword v46, s[20:23], 0 offen lds               // 000000006EE4: E0511000 8005002E
	s_add_u32 m0, 0x500, s49                                   // 000000006EEC: 807C31FF 00000500
	v_mfma_i32_16x16x32_i8 v[72:75], a[74:75], a[42:43], v[72:75]// 000000006EF4: D3D70048 1D22554A
	v_mfma_i32_16x16x32_i8 v[72:75], a[76:77], a[44:45], v[72:75]// 000000006EFC: D3D70048 1D22594C
	buffer_load_dword v47, s[20:23], 0 offen lds               // 000000006F04: E0511000 8005002F
	s_add_u32 m0, 0, s50                                       // 000000006F0C: 807C3280
	v_mfma_i32_16x16x32_i8 v[72:75], a[78:79], a[46:47], v[72:75]// 000000006F10: D3D70048 1D225D4E
	s_waitcnt vmcnt(10)                                        // 000000006F18: BF8C0F7A
	s_barrier                                                  // 000000006F1C: BF8A0000
	v_mfma_i32_16x16x32_i8 v[76:79], a[80:81], a[24:25], v[76:79]// 000000006F20: D3D7004C 1D323150
	buffer_load_dwordx4 a[64:67], v48, s[84:87], 0 offen       // 000000006F28: E05C1000 80954030
	v_mfma_i32_16x16x32_i8 v[76:79], a[82:83], a[26:27], v[76:79]// 000000006F30: D3D7004C 1D323552
	v_mfma_i32_16x16x32_i8 v[76:79], a[84:85], a[28:29], v[76:79]// 000000006F38: D3D7004C 1D323954
	ds_read_b128 a[0:3], v2                                    // 000000006F40: DBFE0000 00000002
	ds_read_b128 a[4:7], v2 offset:64                          // 000000006F48: DBFE0040 04000002
	v_mfma_i32_16x16x32_i8 v[76:79], a[86:87], a[30:31], v[76:79]// 000000006F50: D3D7004C 1D323D56
	v_mfma_i32_16x16x32_i8 v[88:91], a[88:89], a[24:25], v[88:91]// 000000006F58: D3D70058 1D623158
	buffer_load_dwordx4 a[68:71], v48, s[84:87], 0 offen offset:1024// 000000006F60: E05C1400 80954430
	v_mfma_i32_16x16x32_i8 v[88:91], a[90:91], a[26:27], v[88:91]// 000000006F68: D3D70058 1D62355A
	v_mfma_i32_16x16x32_i8 v[88:91], a[92:93], a[28:29], v[88:91]// 000000006F70: D3D70058 1D62395C
	ds_read_b128 a[8:11], v2 offset:512                        // 000000006F78: DBFE0200 08000002
	ds_read_b128 a[12:15], v2 offset:576                       // 000000006F80: DBFE0240 0C000002
	v_mfma_i32_16x16x32_i8 v[88:91], a[94:95], a[30:31], v[88:91]// 000000006F88: D3D70058 1D623D5E
	v_mfma_i32_16x16x32_i8 v[80:83], a[80:81], a[32:33], v[80:83]// 000000006F90: D3D70050 1D424150
	buffer_load_dwordx4 a[72:75], v49, s[84:87], 0 offen       // 000000006F98: E05C1000 80954831
	v_mfma_i32_16x16x32_i8 v[80:83], a[82:83], a[34:35], v[80:83]// 000000006FA0: D3D70050 1D424552
	v_mfma_i32_16x16x32_i8 v[80:83], a[84:85], a[36:37], v[80:83]// 000000006FA8: D3D70050 1D424954
	ds_read_b128 a[16:19], v2 offset:1024                      // 000000006FB0: DBFE0400 10000002
	ds_read_b128 a[20:23], v2 offset:1088                      // 000000006FB8: DBFE0440 14000002
	v_mfma_i32_16x16x32_i8 v[80:83], a[86:87], a[38:39], v[80:83]// 000000006FC0: D3D70050 1D424D56
	v_mfma_i32_16x16x32_i8 v[92:95], a[88:89], a[32:33], v[92:95]// 000000006FC8: D3D7005C 1D724158
	buffer_load_dwordx4 a[76:79], v49, s[84:87], 0 offen offset:1024// 000000006FD0: E05C1400 80954C31
	v_mfma_i32_16x16x32_i8 v[92:95], a[90:91], a[34:35], v[92:95]// 000000006FD8: D3D7005C 1D72455A
	v_mfma_i32_16x16x32_i8 v[92:95], a[92:93], a[36:37], v[92:95]// 000000006FE0: D3D7005C 1D72495C
	v_mfma_i32_16x16x32_i8 v[92:95], a[94:95], a[38:39], v[92:95]// 000000006FE8: D3D7005C 1D724D5E
	v_mfma_i32_16x16x32_i8 v[84:87], a[80:81], a[40:41], v[84:87]// 000000006FF0: D3D70054 1D525150
	s_add_u32 s60, 0x180, s80                                  // 000000006FF8: 803C50FF 00000180
	s_cmp_lt_u32 s60, s81                                      // 000000007000: BF0A513C
	s_cselect_b32 s57, s57, 0                                  // 000000007004: 85398039
	v_mfma_i32_16x16x32_i8 v[84:87], a[82:83], a[42:43], v[84:87]// 000000007008: D3D70054 1D525552
	s_add_u32 s60, 0x100, s80                                  // 000000007010: 803C50FF 00000100
	s_cmp_lt_u32 s60, s81                                      // 000000007018: BF0A513C
	s_cselect_b32 s58, s58, 0                                  // 00000000701C: 853A803A
	v_mfma_i32_16x16x32_i8 v[84:87], a[84:85], a[44:45], v[84:87]// 000000007020: D3D70054 1D525954
	s_add_u32 s60, 0x100, s80                                  // 000000007028: 803C50FF 00000100
	s_cmp_lt_u32 s60, s81                                      // 000000007030: BF0A513C
	s_cselect_b32 s83, s83, 0                                  // 000000007034: 85538053
	v_mfma_i32_16x16x32_i8 v[84:87], a[86:87], a[46:47], v[84:87]// 000000007038: D3D70054 1D525D56
	s_add_u32 s24, s58, s24                                    // 000000007040: 8018183A
	s_addc_u32 s25, 0, s25                                     // 000000007044: 82191980
	v_mfma_i32_16x16x32_i8 v[96:99], a[88:89], a[40:41], v[96:99]// 000000007048: D3D70060 1D825158
	s_add_u32 s20, s57, s20                                    // 000000007050: 80141439
	s_addc_u32 s21, 0, s21                                     // 000000007054: 82151580
	v_mfma_i32_16x16x32_i8 v[96:99], a[90:91], a[42:43], v[96:99]// 000000007058: D3D70060 1D82555A
	s_add_u32 s84, s83, s84                                    // 000000007060: 80545453
	s_addc_u32 s85, 0, s85                                     // 000000007064: 82555580
	v_mfma_i32_16x16x32_i8 v[96:99], a[92:93], a[44:45], v[96:99]// 000000007068: D3D70060 1D82595C
	v_mfma_i32_16x16x32_i8 v[96:99], a[94:95], a[46:47], v[96:99]// 000000007070: D3D70060 1D825D5E
	s_addk_i32 s80, 0x80                                       // 000000007078: B7500080
	s_cmp_lt_i32 s80, s81                                      // 00000000707C: BF045150
	s_cbranch_scc0 label_11A5                                  // 000000007080: BF840001
	s_branch label_0DA2                                        // 000000007084: BF82FBFD

0000000000007088 <label_11A5>:
	v_cvt_f32_i32_e32 v52, v52                                 // 000000007088: 7E680B34
	v_cvt_f32_i32_e32 v53, v53                                 // 00000000708C: 7E6A0B35
	v_cvt_f32_i32_e32 v54, v54                                 // 000000007090: 7E6C0B36
	v_cvt_f32_i32_e32 v55, v55                                 // 000000007094: 7E6E0B37
	v_mul_f32_dpp v52, v24, v52 row_newbcast:0 row_mask:0xf bank_mask:0xf// 000000007098: 0A6868FA FF015018
	v_mul_f32_dpp v53, v24, v53 row_newbcast:1 row_mask:0xf bank_mask:0xf// 0000000070A0: 0A6A6AFA FF015118
	v_mul_f32_dpp v54, v24, v54 row_newbcast:2 row_mask:0xf bank_mask:0xf// 0000000070A8: 0A6C6CFA FF015218
	v_mul_f32_dpp v55, v24, v55 row_newbcast:3 row_mask:0xf bank_mask:0xf// 0000000070B0: 0A6E6EFA FF015318
	v_cvt_f32_i32_e32 v56, v56                                 // 0000000070B8: 7E700B38
	v_cvt_f32_i32_e32 v57, v57                                 // 0000000070BC: 7E720B39
	v_cvt_f32_i32_e32 v58, v58                                 // 0000000070C0: 7E740B3A
	v_cvt_f32_i32_e32 v59, v59                                 // 0000000070C4: 7E760B3B
	v_mul_f32_dpp v56, v24, v56 row_newbcast:0 row_mask:0xf bank_mask:0xf// 0000000070C8: 0A7070FA FF015018
	v_mul_f32_dpp v57, v24, v57 row_newbcast:1 row_mask:0xf bank_mask:0xf// 0000000070D0: 0A7272FA FF015118
	v_mul_f32_dpp v58, v24, v58 row_newbcast:2 row_mask:0xf bank_mask:0xf// 0000000070D8: 0A7474FA FF015218
	v_mul_f32_dpp v59, v24, v59 row_newbcast:3 row_mask:0xf bank_mask:0xf// 0000000070E0: 0A7676FA FF015318
	v_cvt_f32_i32_e32 v60, v60                                 // 0000000070E8: 7E780B3C
	v_cvt_f32_i32_e32 v61, v61                                 // 0000000070EC: 7E7A0B3D
	v_cvt_f32_i32_e32 v62, v62                                 // 0000000070F0: 7E7C0B3E
	v_cvt_f32_i32_e32 v63, v63                                 // 0000000070F4: 7E7E0B3F
	v_mul_f32_dpp v60, v24, v60 row_newbcast:0 row_mask:0xf bank_mask:0xf// 0000000070F8: 0A7878FA FF015018
	v_mul_f32_dpp v61, v24, v61 row_newbcast:1 row_mask:0xf bank_mask:0xf// 000000007100: 0A7A7AFA FF015118
	v_mul_f32_dpp v62, v24, v62 row_newbcast:2 row_mask:0xf bank_mask:0xf// 000000007108: 0A7C7CFA FF015218
	v_mul_f32_dpp v63, v24, v63 row_newbcast:3 row_mask:0xf bank_mask:0xf// 000000007110: 0A7E7EFA FF015318
	v_cvt_f32_i32_e32 v64, v64                                 // 000000007118: 7E800B40
	v_cvt_f32_i32_e32 v65, v65                                 // 00000000711C: 7E820B41
	v_cvt_f32_i32_e32 v66, v66                                 // 000000007120: 7E840B42
	v_cvt_f32_i32_e32 v67, v67                                 // 000000007124: 7E860B43
	v_mul_f32_dpp v64, v24, v64 row_newbcast:4 row_mask:0xf bank_mask:0xf// 000000007128: 0A8080FA FF015418
	v_mul_f32_dpp v65, v24, v65 row_newbcast:5 row_mask:0xf bank_mask:0xf// 000000007130: 0A8282FA FF015518
	v_mul_f32_dpp v66, v24, v66 row_newbcast:6 row_mask:0xf bank_mask:0xf// 000000007138: 0A8484FA FF015618
	v_mul_f32_dpp v67, v24, v67 row_newbcast:7 row_mask:0xf bank_mask:0xf// 000000007140: 0A8686FA FF015718
	v_cvt_f32_i32_e32 v68, v68                                 // 000000007148: 7E880B44
	v_cvt_f32_i32_e32 v69, v69                                 // 00000000714C: 7E8A0B45
	v_cvt_f32_i32_e32 v70, v70                                 // 000000007150: 7E8C0B46
	v_cvt_f32_i32_e32 v71, v71                                 // 000000007154: 7E8E0B47
	v_mul_f32_dpp v68, v24, v68 row_newbcast:4 row_mask:0xf bank_mask:0xf// 000000007158: 0A8888FA FF015418
	v_mul_f32_dpp v69, v24, v69 row_newbcast:5 row_mask:0xf bank_mask:0xf// 000000007160: 0A8A8AFA FF015518
	v_mul_f32_dpp v70, v24, v70 row_newbcast:6 row_mask:0xf bank_mask:0xf// 000000007168: 0A8C8CFA FF015618
	v_mul_f32_dpp v71, v24, v71 row_newbcast:7 row_mask:0xf bank_mask:0xf// 000000007170: 0A8E8EFA FF015718
	v_cvt_f32_i32_e32 v72, v72                                 // 000000007178: 7E900B48
	v_cvt_f32_i32_e32 v73, v73                                 // 00000000717C: 7E920B49
	v_cvt_f32_i32_e32 v74, v74                                 // 000000007180: 7E940B4A
	v_cvt_f32_i32_e32 v75, v75                                 // 000000007184: 7E960B4B
	v_mul_f32_dpp v72, v24, v72 row_newbcast:4 row_mask:0xf bank_mask:0xf// 000000007188: 0A9090FA FF015418
	v_mul_f32_dpp v73, v24, v73 row_newbcast:5 row_mask:0xf bank_mask:0xf// 000000007190: 0A9292FA FF015518
	v_mul_f32_dpp v74, v24, v74 row_newbcast:6 row_mask:0xf bank_mask:0xf// 000000007198: 0A9494FA FF015618
	v_mul_f32_dpp v75, v24, v75 row_newbcast:7 row_mask:0xf bank_mask:0xf// 0000000071A0: 0A9696FA FF015718
	v_cvt_f32_i32_e32 v76, v76                                 // 0000000071A8: 7E980B4C
	v_cvt_f32_i32_e32 v77, v77                                 // 0000000071AC: 7E9A0B4D
	v_cvt_f32_i32_e32 v78, v78                                 // 0000000071B0: 7E9C0B4E
	v_cvt_f32_i32_e32 v79, v79                                 // 0000000071B4: 7E9E0B4F
	v_mul_f32_dpp v76, v27, v76 row_newbcast:0 row_mask:0xf bank_mask:0xf// 0000000071B8: 0A9898FA FF01501B
	v_mul_f32_dpp v77, v27, v77 row_newbcast:1 row_mask:0xf bank_mask:0xf// 0000000071C0: 0A9A9AFA FF01511B
	v_mul_f32_dpp v78, v27, v78 row_newbcast:2 row_mask:0xf bank_mask:0xf// 0000000071C8: 0A9C9CFA FF01521B
	v_mul_f32_dpp v79, v27, v79 row_newbcast:3 row_mask:0xf bank_mask:0xf// 0000000071D0: 0A9E9EFA FF01531B
	v_cvt_f32_i32_e32 v80, v80                                 // 0000000071D8: 7EA00B50
	v_cvt_f32_i32_e32 v81, v81                                 // 0000000071DC: 7EA20B51
	v_cvt_f32_i32_e32 v82, v82                                 // 0000000071E0: 7EA40B52
	v_cvt_f32_i32_e32 v83, v83                                 // 0000000071E4: 7EA60B53
	v_mul_f32_dpp v80, v27, v80 row_newbcast:0 row_mask:0xf bank_mask:0xf// 0000000071E8: 0AA0A0FA FF01501B
	v_mul_f32_dpp v81, v27, v81 row_newbcast:1 row_mask:0xf bank_mask:0xf// 0000000071F0: 0AA2A2FA FF01511B
	v_mul_f32_dpp v82, v27, v82 row_newbcast:2 row_mask:0xf bank_mask:0xf// 0000000071F8: 0AA4A4FA FF01521B
	v_mul_f32_dpp v83, v27, v83 row_newbcast:3 row_mask:0xf bank_mask:0xf// 000000007200: 0AA6A6FA FF01531B
	v_cvt_f32_i32_e32 v84, v84                                 // 000000007208: 7EA80B54
	v_cvt_f32_i32_e32 v85, v85                                 // 00000000720C: 7EAA0B55
	v_cvt_f32_i32_e32 v86, v86                                 // 000000007210: 7EAC0B56
	v_cvt_f32_i32_e32 v87, v87                                 // 000000007214: 7EAE0B57
	v_mul_f32_dpp v84, v27, v84 row_newbcast:0 row_mask:0xf bank_mask:0xf// 000000007218: 0AA8A8FA FF01501B
	v_mul_f32_dpp v85, v27, v85 row_newbcast:1 row_mask:0xf bank_mask:0xf// 000000007220: 0AAAAAFA FF01511B
	v_mul_f32_dpp v86, v27, v86 row_newbcast:2 row_mask:0xf bank_mask:0xf// 000000007228: 0AACACFA FF01521B
	v_mul_f32_dpp v87, v27, v87 row_newbcast:3 row_mask:0xf bank_mask:0xf// 000000007230: 0AAEAEFA FF01531B
	v_cvt_f32_i32_e32 v88, v88                                 // 000000007238: 7EB00B58
	v_cvt_f32_i32_e32 v89, v89                                 // 00000000723C: 7EB20B59
	v_cvt_f32_i32_e32 v90, v90                                 // 000000007240: 7EB40B5A
	v_cvt_f32_i32_e32 v91, v91                                 // 000000007244: 7EB60B5B
	v_mul_f32_dpp v88, v27, v88 row_newbcast:4 row_mask:0xf bank_mask:0xf// 000000007248: 0AB0B0FA FF01541B
	v_mul_f32_dpp v89, v27, v89 row_newbcast:5 row_mask:0xf bank_mask:0xf// 000000007250: 0AB2B2FA FF01551B
	v_mul_f32_dpp v90, v27, v90 row_newbcast:6 row_mask:0xf bank_mask:0xf// 000000007258: 0AB4B4FA FF01561B
	v_mul_f32_dpp v91, v27, v91 row_newbcast:7 row_mask:0xf bank_mask:0xf// 000000007260: 0AB6B6FA FF01571B
	v_cvt_f32_i32_e32 v92, v92                                 // 000000007268: 7EB80B5C
	v_cvt_f32_i32_e32 v93, v93                                 // 00000000726C: 7EBA0B5D
	v_cvt_f32_i32_e32 v94, v94                                 // 000000007270: 7EBC0B5E
	v_cvt_f32_i32_e32 v95, v95                                 // 000000007274: 7EBE0B5F
	v_mul_f32_dpp v92, v27, v92 row_newbcast:4 row_mask:0xf bank_mask:0xf// 000000007278: 0AB8B8FA FF01541B
	v_mul_f32_dpp v93, v27, v93 row_newbcast:5 row_mask:0xf bank_mask:0xf// 000000007280: 0ABABAFA FF01551B
	v_mul_f32_dpp v94, v27, v94 row_newbcast:6 row_mask:0xf bank_mask:0xf// 000000007288: 0ABCBCFA FF01561B
	v_mul_f32_dpp v95, v27, v95 row_newbcast:7 row_mask:0xf bank_mask:0xf// 000000007290: 0ABEBEFA FF01571B
	v_cvt_f32_i32_e32 v96, v96                                 // 000000007298: 7EC00B60
	v_cvt_f32_i32_e32 v97, v97                                 // 00000000729C: 7EC20B61
	v_cvt_f32_i32_e32 v98, v98                                 // 0000000072A0: 7EC40B62
	v_cvt_f32_i32_e32 v99, v99                                 // 0000000072A4: 7EC60B63
	v_mul_f32_dpp v96, v27, v96 row_newbcast:4 row_mask:0xf bank_mask:0xf// 0000000072A8: 0AC0C0FA FF01541B
	v_mul_f32_dpp v97, v27, v97 row_newbcast:5 row_mask:0xf bank_mask:0xf// 0000000072B0: 0AC2C2FA FF01551B
	v_mul_f32_dpp v98, v27, v98 row_newbcast:6 row_mask:0xf bank_mask:0xf// 0000000072B8: 0AC4C4FA FF01561B
	v_mul_f32_dpp v99, v27, v99 row_newbcast:7 row_mask:0xf bank_mask:0xf// 0000000072C0: 0AC6C6FA FF01571B
	v_mov_b32_e32 v4, v33                                      // 0000000072C8: 7E080321
	v_mov_b32_e32 v5, v4                                       // 0000000072CC: 7E0A0304
	v_pk_mul_f32 v[52:53], v[4:5], v[52:53]                    // 0000000072D0: D3B14034 18026904
	v_pk_mul_f32 v[76:77], v[4:5], v[76:77]                    // 0000000072D8: D3B1404C 18029904
	v_pk_mul_f32 v[54:55], v[4:5], v[54:55]                    // 0000000072E0: D3B14036 18026D04
	v_pk_mul_f32 v[78:79], v[4:5], v[78:79]                    // 0000000072E8: D3B1404E 18029D04
	v_pk_mul_f32 v[64:65], v[4:5], v[64:65]                    // 0000000072F0: D3B14040 18028104
	v_pk_mul_f32 v[88:89], v[4:5], v[88:89]                    // 0000000072F8: D3B14058 1802B104
	v_pk_mul_f32 v[66:67], v[4:5], v[66:67]                    // 000000007300: D3B14042 18028504
	v_pk_mul_f32 v[90:91], v[4:5], v[90:91]                    // 000000007308: D3B1405A 1802B504
	v_mov_b32_e32 v4, v34                                      // 000000007310: 7E080322
	v_mov_b32_e32 v5, v4                                       // 000000007314: 7E0A0304
	v_pk_mul_f32 v[56:57], v[4:5], v[56:57]                    // 000000007318: D3B14038 18027104
	v_pk_mul_f32 v[80:81], v[4:5], v[80:81]                    // 000000007320: D3B14050 1802A104
	v_pk_mul_f32 v[58:59], v[4:5], v[58:59]                    // 000000007328: D3B1403A 18027504
	v_pk_mul_f32 v[82:83], v[4:5], v[82:83]                    // 000000007330: D3B14052 1802A504
	v_pk_mul_f32 v[68:69], v[4:5], v[68:69]                    // 000000007338: D3B14044 18028904
	v_pk_mul_f32 v[92:93], v[4:5], v[92:93]                    // 000000007340: D3B1405C 1802B904
	v_pk_mul_f32 v[70:71], v[4:5], v[70:71]                    // 000000007348: D3B14046 18028D04
	v_pk_mul_f32 v[94:95], v[4:5], v[94:95]                    // 000000007350: D3B1405E 1802BD04
	v_mov_b32_e32 v4, v35                                      // 000000007358: 7E080323
	v_mov_b32_e32 v5, v4                                       // 00000000735C: 7E0A0304
	v_pk_mul_f32 v[60:61], v[4:5], v[60:61]                    // 000000007360: D3B1403C 18027904
	v_pk_mul_f32 v[84:85], v[4:5], v[84:85]                    // 000000007368: D3B14054 1802A904
	v_pk_mul_f32 v[62:63], v[4:5], v[62:63]                    // 000000007370: D3B1403E 18027D04
	v_pk_mul_f32 v[86:87], v[4:5], v[86:87]                    // 000000007378: D3B14056 1802AD04
	v_pk_mul_f32 v[72:73], v[4:5], v[72:73]                    // 000000007380: D3B14048 18029104
	v_pk_mul_f32 v[96:97], v[4:5], v[96:97]                    // 000000007388: D3B14060 1802C104
	v_pk_mul_f32 v[74:75], v[4:5], v[74:75]                    // 000000007390: D3B1404A 18029504
	v_pk_mul_f32 v[98:99], v[4:5], v[98:99]                    // 000000007398: D3B14062 1802C504
	s_cmp_eq_u32 s88, 0                                        // 0000000073A0: BF068058
	s_cbranch_scc0 label_1606                                  // 0000000073A4: BF840399
	s_cmp_eq_u32 s89, 0                                        // 0000000073A8: BF068059
	s_cbranch_scc1 label_1364                                  // 0000000073AC: BF8500F5
	v_mov_b32_e32 v8, v1                                       // 0000000073B0: 7E100301
	v_mov_b32_e32 v9, v1                                       // 0000000073B4: 7E120301
	s_mov_b32 s60, s6                                          // 0000000073B8: BEBC0006
	s_mov_b32 s61, s6                                          // 0000000073BC: BEBD0006
	v_pk_mul_f32 v[4:5], v[52:53], v[52:53]                    // 0000000073C0: D3B14004 18026934
	v_pk_mul_f32 v[6:7], v[54:55], v[54:55]                    // 0000000073C8: D3B14006 18026D36
	v_pk_fma_f32 v[4:5], v[4:5], s[78:79], v[8:9]              // 0000000073D0: D3B04004 1C209D04
	v_pk_fma_f32 v[6:7], v[6:7], s[78:79], v[8:9]              // 0000000073D8: D3B04006 1C209D06
	v_pk_mul_f32 v[4:5], v[4:5], v[52:53]                      // 0000000073E0: D3B14004 18026904
	v_pk_mul_f32 v[6:7], v[6:7], v[54:55]                      // 0000000073E8: D3B14006 18026D06
	v_pk_mul_f32 v[4:5], v[4:5], s[60:61]                      // 0000000073F0: D3B14004 18007904
	v_pk_mul_f32 v[6:7], v[6:7], s[60:61]                      // 0000000073F8: D3B14006 18007906
	v_exp_f32_e32 v4, v4                                       // 000000007400: 7E084104
	v_exp_f32_e32 v5, v5                                       // 000000007404: 7E0A4105
	v_exp_f32_e32 v6, v6                                       // 000000007408: 7E0C4106
	v_exp_f32_e32 v7, v7                                       // 00000000740C: 7E0E4107
	v_add_f32_e64 v4, v4, 1.0                                  // 000000007410: D1010004 0001E504
	v_add_f32_e64 v5, v5, 1.0                                  // 000000007418: D1010005 0001E505
	v_add_f32_e64 v6, v6, 1.0                                  // 000000007420: D1010006 0001E506
	v_add_f32_e64 v7, v7, 1.0                                  // 000000007428: D1010007 0001E507
	v_rcp_f32_e32 v4, v4                                       // 000000007430: 7E084504
	v_rcp_f32_e32 v5, v5                                       // 000000007434: 7E0A4505
	v_rcp_f32_e32 v6, v6                                       // 000000007438: 7E0C4506
	v_rcp_f32_e32 v7, v7                                       // 00000000743C: 7E0E4507
	v_mul_f32_e32 v52, v52, v4                                 // 000000007440: 0A680934
	v_mul_f32_e32 v53, v53, v5                                 // 000000007444: 0A6A0B35
	v_mul_f32_e32 v54, v54, v6                                 // 000000007448: 0A6C0D36
	v_mul_f32_e32 v55, v55, v7                                 // 00000000744C: 0A6E0F37
	v_mul_f32_e32 v52, v52, v76                                // 000000007450: 0A689934
	v_mul_f32_e32 v53, v53, v77                                // 000000007454: 0A6A9B35
	v_mul_f32_e32 v54, v54, v78                                // 000000007458: 0A6C9D36
	v_mul_f32_e32 v55, v55, v79                                // 00000000745C: 0A6E9F37
	v_pk_mul_f32 v[4:5], v[56:57], v[56:57]                    // 000000007460: D3B14004 18027138
	v_pk_mul_f32 v[6:7], v[58:59], v[58:59]                    // 000000007468: D3B14006 1802753A
	v_pk_fma_f32 v[4:5], v[4:5], s[78:79], v[8:9]              // 000000007470: D3B04004 1C209D04
	v_pk_fma_f32 v[6:7], v[6:7], s[78:79], v[8:9]              // 000000007478: D3B04006 1C209D06
	v_pk_mul_f32 v[4:5], v[4:5], v[56:57]                      // 000000007480: D3B14004 18027104
	v_pk_mul_f32 v[6:7], v[6:7], v[58:59]                      // 000000007488: D3B14006 18027506
	v_pk_mul_f32 v[4:5], v[4:5], s[60:61]                      // 000000007490: D3B14004 18007904
	v_pk_mul_f32 v[6:7], v[6:7], s[60:61]                      // 000000007498: D3B14006 18007906
	v_exp_f32_e32 v4, v4                                       // 0000000074A0: 7E084104
	v_exp_f32_e32 v5, v5                                       // 0000000074A4: 7E0A4105
	v_exp_f32_e32 v6, v6                                       // 0000000074A8: 7E0C4106
	v_exp_f32_e32 v7, v7                                       // 0000000074AC: 7E0E4107
	v_add_f32_e64 v4, v4, 1.0                                  // 0000000074B0: D1010004 0001E504
	v_add_f32_e64 v5, v5, 1.0                                  // 0000000074B8: D1010005 0001E505
	v_add_f32_e64 v6, v6, 1.0                                  // 0000000074C0: D1010006 0001E506
	v_add_f32_e64 v7, v7, 1.0                                  // 0000000074C8: D1010007 0001E507
	v_rcp_f32_e32 v4, v4                                       // 0000000074D0: 7E084504
	v_rcp_f32_e32 v5, v5                                       // 0000000074D4: 7E0A4505
	v_rcp_f32_e32 v6, v6                                       // 0000000074D8: 7E0C4506
	v_rcp_f32_e32 v7, v7                                       // 0000000074DC: 7E0E4507
	v_mul_f32_e32 v56, v56, v4                                 // 0000000074E0: 0A700938
	v_mul_f32_e32 v57, v57, v5                                 // 0000000074E4: 0A720B39
	v_mul_f32_e32 v58, v58, v6                                 // 0000000074E8: 0A740D3A
	v_mul_f32_e32 v59, v59, v7                                 // 0000000074EC: 0A760F3B
	v_mul_f32_e32 v56, v56, v80                                // 0000000074F0: 0A70A138
	v_mul_f32_e32 v57, v57, v81                                // 0000000074F4: 0A72A339
	v_mul_f32_e32 v58, v58, v82                                // 0000000074F8: 0A74A53A
	v_mul_f32_e32 v59, v59, v83                                // 0000000074FC: 0A76A73B
	v_pk_mul_f32 v[4:5], v[60:61], v[60:61]                    // 000000007500: D3B14004 1802793C
	v_pk_mul_f32 v[6:7], v[62:63], v[62:63]                    // 000000007508: D3B14006 18027D3E
	v_pk_fma_f32 v[4:5], v[4:5], s[78:79], v[8:9]              // 000000007510: D3B04004 1C209D04
	v_pk_fma_f32 v[6:7], v[6:7], s[78:79], v[8:9]              // 000000007518: D3B04006 1C209D06
	v_pk_mul_f32 v[4:5], v[4:5], v[60:61]                      // 000000007520: D3B14004 18027904
	v_pk_mul_f32 v[6:7], v[6:7], v[62:63]                      // 000000007528: D3B14006 18027D06
	v_pk_mul_f32 v[4:5], v[4:5], s[60:61]                      // 000000007530: D3B14004 18007904
	v_pk_mul_f32 v[6:7], v[6:7], s[60:61]                      // 000000007538: D3B14006 18007906
	v_exp_f32_e32 v4, v4                                       // 000000007540: 7E084104
	v_exp_f32_e32 v5, v5                                       // 000000007544: 7E0A4105
	v_exp_f32_e32 v6, v6                                       // 000000007548: 7E0C4106
	v_exp_f32_e32 v7, v7                                       // 00000000754C: 7E0E4107
	v_add_f32_e64 v4, v4, 1.0                                  // 000000007550: D1010004 0001E504
	v_add_f32_e64 v5, v5, 1.0                                  // 000000007558: D1010005 0001E505
	v_add_f32_e64 v6, v6, 1.0                                  // 000000007560: D1010006 0001E506
	v_add_f32_e64 v7, v7, 1.0                                  // 000000007568: D1010007 0001E507
	v_rcp_f32_e32 v4, v4                                       // 000000007570: 7E084504
	v_rcp_f32_e32 v5, v5                                       // 000000007574: 7E0A4505
	v_rcp_f32_e32 v6, v6                                       // 000000007578: 7E0C4506
	v_rcp_f32_e32 v7, v7                                       // 00000000757C: 7E0E4507
	v_mul_f32_e32 v60, v60, v4                                 // 000000007580: 0A78093C
	v_mul_f32_e32 v61, v61, v5                                 // 000000007584: 0A7A0B3D
	v_mul_f32_e32 v62, v62, v6                                 // 000000007588: 0A7C0D3E
	v_mul_f32_e32 v63, v63, v7                                 // 00000000758C: 0A7E0F3F
	v_mul_f32_e32 v60, v60, v84                                // 000000007590: 0A78A93C
	v_mul_f32_e32 v61, v61, v85                                // 000000007594: 0A7AAB3D
	v_mul_f32_e32 v62, v62, v86                                // 000000007598: 0A7CAD3E
	v_mul_f32_e32 v63, v63, v87                                // 00000000759C: 0A7EAF3F
	v_pk_mul_f32 v[4:5], v[64:65], v[64:65]                    // 0000000075A0: D3B14004 18028140
	v_pk_mul_f32 v[6:7], v[66:67], v[66:67]                    // 0000000075A8: D3B14006 18028542
	v_pk_fma_f32 v[4:5], v[4:5], s[78:79], v[8:9]              // 0000000075B0: D3B04004 1C209D04
	v_pk_fma_f32 v[6:7], v[6:7], s[78:79], v[8:9]              // 0000000075B8: D3B04006 1C209D06
	v_pk_mul_f32 v[4:5], v[4:5], v[64:65]                      // 0000000075C0: D3B14004 18028104
	v_pk_mul_f32 v[6:7], v[6:7], v[66:67]                      // 0000000075C8: D3B14006 18028506
	v_pk_mul_f32 v[4:5], v[4:5], s[60:61]                      // 0000000075D0: D3B14004 18007904
	v_pk_mul_f32 v[6:7], v[6:7], s[60:61]                      // 0000000075D8: D3B14006 18007906
	v_exp_f32_e32 v4, v4                                       // 0000000075E0: 7E084104
	v_exp_f32_e32 v5, v5                                       // 0000000075E4: 7E0A4105
	v_exp_f32_e32 v6, v6                                       // 0000000075E8: 7E0C4106
	v_exp_f32_e32 v7, v7                                       // 0000000075EC: 7E0E4107
	v_add_f32_e64 v4, v4, 1.0                                  // 0000000075F0: D1010004 0001E504
	v_add_f32_e64 v5, v5, 1.0                                  // 0000000075F8: D1010005 0001E505
	v_add_f32_e64 v6, v6, 1.0                                  // 000000007600: D1010006 0001E506
	v_add_f32_e64 v7, v7, 1.0                                  // 000000007608: D1010007 0001E507
	v_rcp_f32_e32 v4, v4                                       // 000000007610: 7E084504
	v_rcp_f32_e32 v5, v5                                       // 000000007614: 7E0A4505
	v_rcp_f32_e32 v6, v6                                       // 000000007618: 7E0C4506
	v_rcp_f32_e32 v7, v7                                       // 00000000761C: 7E0E4507
	v_mul_f32_e32 v64, v64, v4                                 // 000000007620: 0A800940
	v_mul_f32_e32 v65, v65, v5                                 // 000000007624: 0A820B41
	v_mul_f32_e32 v66, v66, v6                                 // 000000007628: 0A840D42
	v_mul_f32_e32 v67, v67, v7                                 // 00000000762C: 0A860F43
	v_mul_f32_e32 v64, v64, v88                                // 000000007630: 0A80B140
	v_mul_f32_e32 v65, v65, v89                                // 000000007634: 0A82B341
	v_mul_f32_e32 v66, v66, v90                                // 000000007638: 0A84B542
	v_mul_f32_e32 v67, v67, v91                                // 00000000763C: 0A86B743
	v_pk_mul_f32 v[4:5], v[68:69], v[68:69]                    // 000000007640: D3B14004 18028944
	v_pk_mul_f32 v[6:7], v[70:71], v[70:71]                    // 000000007648: D3B14006 18028D46
	v_pk_fma_f32 v[4:5], v[4:5], s[78:79], v[8:9]              // 000000007650: D3B04004 1C209D04
	v_pk_fma_f32 v[6:7], v[6:7], s[78:79], v[8:9]              // 000000007658: D3B04006 1C209D06
	v_pk_mul_f32 v[4:5], v[4:5], v[68:69]                      // 000000007660: D3B14004 18028904
	v_pk_mul_f32 v[6:7], v[6:7], v[70:71]                      // 000000007668: D3B14006 18028D06
	v_pk_mul_f32 v[4:5], v[4:5], s[60:61]                      // 000000007670: D3B14004 18007904
	v_pk_mul_f32 v[6:7], v[6:7], s[60:61]                      // 000000007678: D3B14006 18007906
	v_exp_f32_e32 v4, v4                                       // 000000007680: 7E084104
	v_exp_f32_e32 v5, v5                                       // 000000007684: 7E0A4105
	v_exp_f32_e32 v6, v6                                       // 000000007688: 7E0C4106
	v_exp_f32_e32 v7, v7                                       // 00000000768C: 7E0E4107
	v_add_f32_e64 v4, v4, 1.0                                  // 000000007690: D1010004 0001E504
	v_add_f32_e64 v5, v5, 1.0                                  // 000000007698: D1010005 0001E505
	v_add_f32_e64 v6, v6, 1.0                                  // 0000000076A0: D1010006 0001E506
	v_add_f32_e64 v7, v7, 1.0                                  // 0000000076A8: D1010007 0001E507
	v_rcp_f32_e32 v4, v4                                       // 0000000076B0: 7E084504
	v_rcp_f32_e32 v5, v5                                       // 0000000076B4: 7E0A4505
	v_rcp_f32_e32 v6, v6                                       // 0000000076B8: 7E0C4506
	v_rcp_f32_e32 v7, v7                                       // 0000000076BC: 7E0E4507
	v_mul_f32_e32 v68, v68, v4                                 // 0000000076C0: 0A880944
	v_mul_f32_e32 v69, v69, v5                                 // 0000000076C4: 0A8A0B45
	v_mul_f32_e32 v70, v70, v6                                 // 0000000076C8: 0A8C0D46
	v_mul_f32_e32 v71, v71, v7                                 // 0000000076CC: 0A8E0F47
	v_mul_f32_e32 v68, v68, v92                                // 0000000076D0: 0A88B944
	v_mul_f32_e32 v69, v69, v93                                // 0000000076D4: 0A8ABB45
	v_mul_f32_e32 v70, v70, v94                                // 0000000076D8: 0A8CBD46
	v_mul_f32_e32 v71, v71, v95                                // 0000000076DC: 0A8EBF47
	v_pk_mul_f32 v[4:5], v[72:73], v[72:73]                    // 0000000076E0: D3B14004 18029148
	v_pk_mul_f32 v[6:7], v[74:75], v[74:75]                    // 0000000076E8: D3B14006 1802954A
	v_pk_fma_f32 v[4:5], v[4:5], s[78:79], v[8:9]              // 0000000076F0: D3B04004 1C209D04
	v_pk_fma_f32 v[6:7], v[6:7], s[78:79], v[8:9]              // 0000000076F8: D3B04006 1C209D06
	v_pk_mul_f32 v[4:5], v[4:5], v[72:73]                      // 000000007700: D3B14004 18029104
	v_pk_mul_f32 v[6:7], v[6:7], v[74:75]                      // 000000007708: D3B14006 18029506
	v_pk_mul_f32 v[4:5], v[4:5], s[60:61]                      // 000000007710: D3B14004 18007904
	v_pk_mul_f32 v[6:7], v[6:7], s[60:61]                      // 000000007718: D3B14006 18007906
	v_exp_f32_e32 v4, v4                                       // 000000007720: 7E084104
	v_exp_f32_e32 v5, v5                                       // 000000007724: 7E0A4105
	v_exp_f32_e32 v6, v6                                       // 000000007728: 7E0C4106
	v_exp_f32_e32 v7, v7                                       // 00000000772C: 7E0E4107
	v_add_f32_e64 v4, v4, 1.0                                  // 000000007730: D1010004 0001E504
	v_add_f32_e64 v5, v5, 1.0                                  // 000000007738: D1010005 0001E505
	v_add_f32_e64 v6, v6, 1.0                                  // 000000007740: D1010006 0001E506
	v_add_f32_e64 v7, v7, 1.0                                  // 000000007748: D1010007 0001E507
	v_rcp_f32_e32 v4, v4                                       // 000000007750: 7E084504
	v_rcp_f32_e32 v5, v5                                       // 000000007754: 7E0A4505
	v_rcp_f32_e32 v6, v6                                       // 000000007758: 7E0C4506
	v_rcp_f32_e32 v7, v7                                       // 00000000775C: 7E0E4507
	v_mul_f32_e32 v72, v72, v4                                 // 000000007760: 0A900948
	v_mul_f32_e32 v73, v73, v5                                 // 000000007764: 0A920B49
	v_mul_f32_e32 v74, v74, v6                                 // 000000007768: 0A940D4A
	v_mul_f32_e32 v75, v75, v7                                 // 00000000776C: 0A960F4B
	v_mul_f32_e32 v72, v72, v96                                // 000000007770: 0A90C148
	v_mul_f32_e32 v73, v73, v97                                // 000000007774: 0A92C349
	v_mul_f32_e32 v74, v74, v98                                // 000000007778: 0A94C54A
	v_mul_f32_e32 v75, v75, v99                                // 00000000777C: 0A96C74B
	s_branch label_1424                                        // 000000007780: BF8200C0

0000000000007784 <label_1364>:
	v_mul_f32_e64 v4, -v52, s6                                 // 000000007784: D1050004 20000D34
	v_mul_f32_e64 v5, -v53, s6                                 // 00000000778C: D1050005 20000D35
	v_mul_f32_e64 v6, -v54, s6                                 // 000000007794: D1050006 20000D36
	v_mul_f32_e64 v7, -v55, s6                                 // 00000000779C: D1050007 20000D37
	v_exp_f32_e32 v4, v4                                       // 0000000077A4: 7E084104
	v_exp_f32_e32 v5, v5                                       // 0000000077A8: 7E0A4105
	v_exp_f32_e32 v6, v6                                       // 0000000077AC: 7E0C4106
	v_exp_f32_e32 v7, v7                                       // 0000000077B0: 7E0E4107
	v_add_f32_e64 v4, v4, 1.0                                  // 0000000077B4: D1010004 0001E504
	v_add_f32_e64 v5, v5, 1.0                                  // 0000000077BC: D1010005 0001E505
	v_add_f32_e64 v6, v6, 1.0                                  // 0000000077C4: D1010006 0001E506
	v_add_f32_e64 v7, v7, 1.0                                  // 0000000077CC: D1010007 0001E507
	v_rcp_f32_e32 v4, v4                                       // 0000000077D4: 7E084504
	v_rcp_f32_e32 v5, v5                                       // 0000000077D8: 7E0A4505
	v_rcp_f32_e32 v6, v6                                       // 0000000077DC: 7E0C4506
	v_rcp_f32_e32 v7, v7                                       // 0000000077E0: 7E0E4507
	v_mul_f32_e32 v52, v52, v4                                 // 0000000077E4: 0A680934
	v_mul_f32_e32 v53, v53, v5                                 // 0000000077E8: 0A6A0B35
	v_mul_f32_e32 v54, v54, v6                                 // 0000000077EC: 0A6C0D36
	v_mul_f32_e32 v55, v55, v7                                 // 0000000077F0: 0A6E0F37
	v_mul_f32_e32 v52, v52, v76                                // 0000000077F4: 0A689934
	v_mul_f32_e32 v53, v53, v77                                // 0000000077F8: 0A6A9B35
	v_mul_f32_e32 v54, v54, v78                                // 0000000077FC: 0A6C9D36
	v_mul_f32_e32 v55, v55, v79                                // 000000007800: 0A6E9F37
	v_mul_f32_e64 v4, -v56, s6                                 // 000000007804: D1050004 20000D38
	v_mul_f32_e64 v5, -v57, s6                                 // 00000000780C: D1050005 20000D39
	v_mul_f32_e64 v6, -v58, s6                                 // 000000007814: D1050006 20000D3A
	v_mul_f32_e64 v7, -v59, s6                                 // 00000000781C: D1050007 20000D3B
	v_exp_f32_e32 v4, v4                                       // 000000007824: 7E084104
	v_exp_f32_e32 v5, v5                                       // 000000007828: 7E0A4105
	v_exp_f32_e32 v6, v6                                       // 00000000782C: 7E0C4106
	v_exp_f32_e32 v7, v7                                       // 000000007830: 7E0E4107
	v_add_f32_e64 v4, v4, 1.0                                  // 000000007834: D1010004 0001E504
	v_add_f32_e64 v5, v5, 1.0                                  // 00000000783C: D1010005 0001E505
	v_add_f32_e64 v6, v6, 1.0                                  // 000000007844: D1010006 0001E506
	v_add_f32_e64 v7, v7, 1.0                                  // 00000000784C: D1010007 0001E507
	v_rcp_f32_e32 v4, v4                                       // 000000007854: 7E084504
	v_rcp_f32_e32 v5, v5                                       // 000000007858: 7E0A4505
	v_rcp_f32_e32 v6, v6                                       // 00000000785C: 7E0C4506
	v_rcp_f32_e32 v7, v7                                       // 000000007860: 7E0E4507
	v_mul_f32_e32 v56, v56, v4                                 // 000000007864: 0A700938
	v_mul_f32_e32 v57, v57, v5                                 // 000000007868: 0A720B39
	v_mul_f32_e32 v58, v58, v6                                 // 00000000786C: 0A740D3A
	v_mul_f32_e32 v59, v59, v7                                 // 000000007870: 0A760F3B
	v_mul_f32_e32 v56, v56, v80                                // 000000007874: 0A70A138
	v_mul_f32_e32 v57, v57, v81                                // 000000007878: 0A72A339
	v_mul_f32_e32 v58, v58, v82                                // 00000000787C: 0A74A53A
	v_mul_f32_e32 v59, v59, v83                                // 000000007880: 0A76A73B
	v_mul_f32_e64 v4, -v60, s6                                 // 000000007884: D1050004 20000D3C
	v_mul_f32_e64 v5, -v61, s6                                 // 00000000788C: D1050005 20000D3D
	v_mul_f32_e64 v6, -v62, s6                                 // 000000007894: D1050006 20000D3E
	v_mul_f32_e64 v7, -v63, s6                                 // 00000000789C: D1050007 20000D3F
	v_exp_f32_e32 v4, v4                                       // 0000000078A4: 7E084104
	v_exp_f32_e32 v5, v5                                       // 0000000078A8: 7E0A4105
	v_exp_f32_e32 v6, v6                                       // 0000000078AC: 7E0C4106
	v_exp_f32_e32 v7, v7                                       // 0000000078B0: 7E0E4107
	v_add_f32_e64 v4, v4, 1.0                                  // 0000000078B4: D1010004 0001E504
	v_add_f32_e64 v5, v5, 1.0                                  // 0000000078BC: D1010005 0001E505
	v_add_f32_e64 v6, v6, 1.0                                  // 0000000078C4: D1010006 0001E506
	v_add_f32_e64 v7, v7, 1.0                                  // 0000000078CC: D1010007 0001E507
	v_rcp_f32_e32 v4, v4                                       // 0000000078D4: 7E084504
	v_rcp_f32_e32 v5, v5                                       // 0000000078D8: 7E0A4505
	v_rcp_f32_e32 v6, v6                                       // 0000000078DC: 7E0C4506
	v_rcp_f32_e32 v7, v7                                       // 0000000078E0: 7E0E4507
	v_mul_f32_e32 v60, v60, v4                                 // 0000000078E4: 0A78093C
	v_mul_f32_e32 v61, v61, v5                                 // 0000000078E8: 0A7A0B3D
	v_mul_f32_e32 v62, v62, v6                                 // 0000000078EC: 0A7C0D3E
	v_mul_f32_e32 v63, v63, v7                                 // 0000000078F0: 0A7E0F3F
	v_mul_f32_e32 v60, v60, v84                                // 0000000078F4: 0A78A93C
	v_mul_f32_e32 v61, v61, v85                                // 0000000078F8: 0A7AAB3D
	v_mul_f32_e32 v62, v62, v86                                // 0000000078FC: 0A7CAD3E
	v_mul_f32_e32 v63, v63, v87                                // 000000007900: 0A7EAF3F
	v_mul_f32_e64 v4, -v64, s6                                 // 000000007904: D1050004 20000D40
	v_mul_f32_e64 v5, -v65, s6                                 // 00000000790C: D1050005 20000D41
	v_mul_f32_e64 v6, -v66, s6                                 // 000000007914: D1050006 20000D42
	v_mul_f32_e64 v7, -v67, s6                                 // 00000000791C: D1050007 20000D43
	v_exp_f32_e32 v4, v4                                       // 000000007924: 7E084104
	v_exp_f32_e32 v5, v5                                       // 000000007928: 7E0A4105
	v_exp_f32_e32 v6, v6                                       // 00000000792C: 7E0C4106
	v_exp_f32_e32 v7, v7                                       // 000000007930: 7E0E4107
	v_add_f32_e64 v4, v4, 1.0                                  // 000000007934: D1010004 0001E504
	v_add_f32_e64 v5, v5, 1.0                                  // 00000000793C: D1010005 0001E505
	v_add_f32_e64 v6, v6, 1.0                                  // 000000007944: D1010006 0001E506
	v_add_f32_e64 v7, v7, 1.0                                  // 00000000794C: D1010007 0001E507
	v_rcp_f32_e32 v4, v4                                       // 000000007954: 7E084504
	v_rcp_f32_e32 v5, v5                                       // 000000007958: 7E0A4505
	v_rcp_f32_e32 v6, v6                                       // 00000000795C: 7E0C4506
	v_rcp_f32_e32 v7, v7                                       // 000000007960: 7E0E4507
	v_mul_f32_e32 v64, v64, v4                                 // 000000007964: 0A800940
	v_mul_f32_e32 v65, v65, v5                                 // 000000007968: 0A820B41
	v_mul_f32_e32 v66, v66, v6                                 // 00000000796C: 0A840D42
	v_mul_f32_e32 v67, v67, v7                                 // 000000007970: 0A860F43
	v_mul_f32_e32 v64, v64, v88                                // 000000007974: 0A80B140
	v_mul_f32_e32 v65, v65, v89                                // 000000007978: 0A82B341
	v_mul_f32_e32 v66, v66, v90                                // 00000000797C: 0A84B542
	v_mul_f32_e32 v67, v67, v91                                // 000000007980: 0A86B743
	v_mul_f32_e64 v4, -v68, s6                                 // 000000007984: D1050004 20000D44
	v_mul_f32_e64 v5, -v69, s6                                 // 00000000798C: D1050005 20000D45
	v_mul_f32_e64 v6, -v70, s6                                 // 000000007994: D1050006 20000D46
	v_mul_f32_e64 v7, -v71, s6                                 // 00000000799C: D1050007 20000D47
	v_exp_f32_e32 v4, v4                                       // 0000000079A4: 7E084104
	v_exp_f32_e32 v5, v5                                       // 0000000079A8: 7E0A4105
	v_exp_f32_e32 v6, v6                                       // 0000000079AC: 7E0C4106
	v_exp_f32_e32 v7, v7                                       // 0000000079B0: 7E0E4107
	v_add_f32_e64 v4, v4, 1.0                                  // 0000000079B4: D1010004 0001E504
	v_add_f32_e64 v5, v5, 1.0                                  // 0000000079BC: D1010005 0001E505
	v_add_f32_e64 v6, v6, 1.0                                  // 0000000079C4: D1010006 0001E506
	v_add_f32_e64 v7, v7, 1.0                                  // 0000000079CC: D1010007 0001E507
	v_rcp_f32_e32 v4, v4                                       // 0000000079D4: 7E084504
	v_rcp_f32_e32 v5, v5                                       // 0000000079D8: 7E0A4505
	v_rcp_f32_e32 v6, v6                                       // 0000000079DC: 7E0C4506
	v_rcp_f32_e32 v7, v7                                       // 0000000079E0: 7E0E4507
	v_mul_f32_e32 v68, v68, v4                                 // 0000000079E4: 0A880944
	v_mul_f32_e32 v69, v69, v5                                 // 0000000079E8: 0A8A0B45
	v_mul_f32_e32 v70, v70, v6                                 // 0000000079EC: 0A8C0D46
	v_mul_f32_e32 v71, v71, v7                                 // 0000000079F0: 0A8E0F47
	v_mul_f32_e32 v68, v68, v92                                // 0000000079F4: 0A88B944
	v_mul_f32_e32 v69, v69, v93                                // 0000000079F8: 0A8ABB45
	v_mul_f32_e32 v70, v70, v94                                // 0000000079FC: 0A8CBD46
	v_mul_f32_e32 v71, v71, v95                                // 000000007A00: 0A8EBF47
	v_mul_f32_e64 v4, -v72, s6                                 // 000000007A04: D1050004 20000D48
	v_mul_f32_e64 v5, -v73, s6                                 // 000000007A0C: D1050005 20000D49
	v_mul_f32_e64 v6, -v74, s6                                 // 000000007A14: D1050006 20000D4A
	v_mul_f32_e64 v7, -v75, s6                                 // 000000007A1C: D1050007 20000D4B
	v_exp_f32_e32 v4, v4                                       // 000000007A24: 7E084104
	v_exp_f32_e32 v5, v5                                       // 000000007A28: 7E0A4105
	v_exp_f32_e32 v6, v6                                       // 000000007A2C: 7E0C4106
	v_exp_f32_e32 v7, v7                                       // 000000007A30: 7E0E4107
	v_add_f32_e64 v4, v4, 1.0                                  // 000000007A34: D1010004 0001E504
	v_add_f32_e64 v5, v5, 1.0                                  // 000000007A3C: D1010005 0001E505
	v_add_f32_e64 v6, v6, 1.0                                  // 000000007A44: D1010006 0001E506
	v_add_f32_e64 v7, v7, 1.0                                  // 000000007A4C: D1010007 0001E507
	v_rcp_f32_e32 v4, v4                                       // 000000007A54: 7E084504
	v_rcp_f32_e32 v5, v5                                       // 000000007A58: 7E0A4505
	v_rcp_f32_e32 v6, v6                                       // 000000007A5C: 7E0C4506
	v_rcp_f32_e32 v7, v7                                       // 000000007A60: 7E0E4507
	v_mul_f32_e32 v72, v72, v4                                 // 000000007A64: 0A900948
	v_mul_f32_e32 v73, v73, v5                                 // 000000007A68: 0A920B49
	v_mul_f32_e32 v74, v74, v6                                 // 000000007A6C: 0A940D4A
	v_mul_f32_e32 v75, v75, v7                                 // 000000007A70: 0A960F4B
	v_mul_f32_e32 v72, v72, v96                                // 000000007A74: 0A90C148
	v_mul_f32_e32 v73, v73, v97                                // 000000007A78: 0A92C349
	v_mul_f32_e32 v74, v74, v98                                // 000000007A7C: 0A94C54A
	v_mul_f32_e32 v75, v75, v99                                // 000000007A80: 0A96C74B

0000000000007a84 <label_1424>:
	v_cmp_u_f32_e64 s[46:47], v52, v52                         // 000000007A84: D048002E 00026934
	v_add3_u32 v16, v52, v19, 1                                // 000000007A8C: D1FF0010 02062734
	v_cndmask_b32_e64 v4, v16, v18, s[46:47]                   // 000000007A94: D1000004 00BA2510
	v_cmp_u_f32_e64 s[46:47], v53, v53                         // 000000007A9C: D048002E 00026B35
	v_add3_u32 v16, v53, v19, 1                                // 000000007AA4: D1FF0010 02062735
	v_cndmask_b32_e64 v5, v16, v18, s[46:47]                   // 000000007AAC: D1000005 00BA2510
	v_perm_b32 v52, v5, v4, s52                                // 000000007AB4: D1ED0034 00D20905
	v_cmp_u_f32_e64 s[46:47], v54, v54                         // 000000007ABC: D048002E 00026D36
	v_add3_u32 v16, v54, v19, 1                                // 000000007AC4: D1FF0010 02062736
	v_cndmask_b32_e64 v4, v16, v18, s[46:47]                   // 000000007ACC: D1000004 00BA2510
	v_cmp_u_f32_e64 s[46:47], v55, v55                         // 000000007AD4: D048002E 00026F37
	v_add3_u32 v16, v55, v19, 1                                // 000000007ADC: D1FF0010 02062737
	v_cndmask_b32_e64 v5, v16, v18, s[46:47]                   // 000000007AE4: D1000005 00BA2510
	v_perm_b32 v53, v5, v4, s52                                // 000000007AEC: D1ED0035 00D20905
	v_cmp_u_f32_e64 s[46:47], v56, v56                         // 000000007AF4: D048002E 00027138
	v_add3_u32 v16, v56, v19, 1                                // 000000007AFC: D1FF0010 02062738
	v_cndmask_b32_e64 v4, v16, v18, s[46:47]                   // 000000007B04: D1000004 00BA2510
	v_cmp_u_f32_e64 s[46:47], v57, v57                         // 000000007B0C: D048002E 00027339
	v_add3_u32 v16, v57, v19, 1                                // 000000007B14: D1FF0010 02062739
	v_cndmask_b32_e64 v5, v16, v18, s[46:47]                   // 000000007B1C: D1000005 00BA2510
	v_perm_b32 v54, v5, v4, s52                                // 000000007B24: D1ED0036 00D20905
	v_cmp_u_f32_e64 s[46:47], v58, v58                         // 000000007B2C: D048002E 0002753A
	v_add3_u32 v16, v58, v19, 1                                // 000000007B34: D1FF0010 0206273A
	v_cndmask_b32_e64 v4, v16, v18, s[46:47]                   // 000000007B3C: D1000004 00BA2510
	v_cmp_u_f32_e64 s[46:47], v59, v59                         // 000000007B44: D048002E 0002773B
	v_add3_u32 v16, v59, v19, 1                                // 000000007B4C: D1FF0010 0206273B
	v_cndmask_b32_e64 v5, v16, v18, s[46:47]                   // 000000007B54: D1000005 00BA2510
	v_perm_b32 v55, v5, v4, s52                                // 000000007B5C: D1ED0037 00D20905
	v_cmp_u_f32_e64 s[46:47], v60, v60                         // 000000007B64: D048002E 0002793C
	v_add3_u32 v16, v60, v19, 1                                // 000000007B6C: D1FF0010 0206273C
	v_cndmask_b32_e64 v4, v16, v18, s[46:47]                   // 000000007B74: D1000004 00BA2510
	v_cmp_u_f32_e64 s[46:47], v61, v61                         // 000000007B7C: D048002E 00027B3D
	v_add3_u32 v16, v61, v19, 1                                // 000000007B84: D1FF0010 0206273D
	v_cndmask_b32_e64 v5, v16, v18, s[46:47]                   // 000000007B8C: D1000005 00BA2510
	v_perm_b32 v56, v5, v4, s52                                // 000000007B94: D1ED0038 00D20905
	v_cmp_u_f32_e64 s[46:47], v62, v62                         // 000000007B9C: D048002E 00027D3E
	v_add3_u32 v16, v62, v19, 1                                // 000000007BA4: D1FF0010 0206273E
	v_cndmask_b32_e64 v4, v16, v18, s[46:47]                   // 000000007BAC: D1000004 00BA2510
	v_cmp_u_f32_e64 s[46:47], v63, v63                         // 000000007BB4: D048002E 00027F3F
	v_add3_u32 v16, v63, v19, 1                                // 000000007BBC: D1FF0010 0206273F
	v_cndmask_b32_e64 v5, v16, v18, s[46:47]                   // 000000007BC4: D1000005 00BA2510
	v_perm_b32 v57, v5, v4, s52                                // 000000007BCC: D1ED0039 00D20905
	v_cmp_u_f32_e64 s[46:47], v64, v64                         // 000000007BD4: D048002E 00028140
	v_add3_u32 v16, v64, v19, 1                                // 000000007BDC: D1FF0010 02062740
	v_cndmask_b32_e64 v4, v16, v18, s[46:47]                   // 000000007BE4: D1000004 00BA2510
	v_cmp_u_f32_e64 s[46:47], v65, v65                         // 000000007BEC: D048002E 00028341
	v_add3_u32 v16, v65, v19, 1                                // 000000007BF4: D1FF0010 02062741
	v_cndmask_b32_e64 v5, v16, v18, s[46:47]                   // 000000007BFC: D1000005 00BA2510
	v_perm_b32 v58, v5, v4, s52                                // 000000007C04: D1ED003A 00D20905
	v_cmp_u_f32_e64 s[46:47], v66, v66                         // 000000007C0C: D048002E 00028542
	v_add3_u32 v16, v66, v19, 1                                // 000000007C14: D1FF0010 02062742
	v_cndmask_b32_e64 v4, v16, v18, s[46:47]                   // 000000007C1C: D1000004 00BA2510
	v_cmp_u_f32_e64 s[46:47], v67, v67                         // 000000007C24: D048002E 00028743
	v_add3_u32 v16, v67, v19, 1                                // 000000007C2C: D1FF0010 02062743
	v_cndmask_b32_e64 v5, v16, v18, s[46:47]                   // 000000007C34: D1000005 00BA2510
	v_perm_b32 v59, v5, v4, s52                                // 000000007C3C: D1ED003B 00D20905
	v_cmp_u_f32_e64 s[46:47], v68, v68                         // 000000007C44: D048002E 00028944
	v_add3_u32 v16, v68, v19, 1                                // 000000007C4C: D1FF0010 02062744
	v_cndmask_b32_e64 v4, v16, v18, s[46:47]                   // 000000007C54: D1000004 00BA2510
	v_cmp_u_f32_e64 s[46:47], v69, v69                         // 000000007C5C: D048002E 00028B45
	v_add3_u32 v16, v69, v19, 1                                // 000000007C64: D1FF0010 02062745
	v_cndmask_b32_e64 v5, v16, v18, s[46:47]                   // 000000007C6C: D1000005 00BA2510
	v_perm_b32 v60, v5, v4, s52                                // 000000007C74: D1ED003C 00D20905
	v_cmp_u_f32_e64 s[46:47], v70, v70                         // 000000007C7C: D048002E 00028D46
	v_add3_u32 v16, v70, v19, 1                                // 000000007C84: D1FF0010 02062746
	v_cndmask_b32_e64 v4, v16, v18, s[46:47]                   // 000000007C8C: D1000004 00BA2510
	v_cmp_u_f32_e64 s[46:47], v71, v71                         // 000000007C94: D048002E 00028F47
	v_add3_u32 v16, v71, v19, 1                                // 000000007C9C: D1FF0010 02062747
	v_cndmask_b32_e64 v5, v16, v18, s[46:47]                   // 000000007CA4: D1000005 00BA2510
	v_perm_b32 v61, v5, v4, s52                                // 000000007CAC: D1ED003D 00D20905
	v_cmp_u_f32_e64 s[46:47], v72, v72                         // 000000007CB4: D048002E 00029148
	v_add3_u32 v16, v72, v19, 1                                // 000000007CBC: D1FF0010 02062748
	v_cndmask_b32_e64 v4, v16, v18, s[46:47]                   // 000000007CC4: D1000004 00BA2510
	v_cmp_u_f32_e64 s[46:47], v73, v73                         // 000000007CCC: D048002E 00029349
	v_add3_u32 v16, v73, v19, 1                                // 000000007CD4: D1FF0010 02062749
	v_cndmask_b32_e64 v5, v16, v18, s[46:47]                   // 000000007CDC: D1000005 00BA2510
	v_perm_b32 v62, v5, v4, s52                                // 000000007CE4: D1ED003E 00D20905
	v_cmp_u_f32_e64 s[46:47], v74, v74                         // 000000007CEC: D048002E 0002954A
	v_add3_u32 v16, v74, v19, 1                                // 000000007CF4: D1FF0010 0206274A
	v_cndmask_b32_e64 v4, v16, v18, s[46:47]                   // 000000007CFC: D1000004 00BA2510
	v_cmp_u_f32_e64 s[46:47], v75, v75                         // 000000007D04: D048002E 0002974B
	v_add3_u32 v16, v75, v19, 1                                // 000000007D0C: D1FF0010 0206274B
	v_cndmask_b32_e64 v5, v16, v18, s[46:47]                   // 000000007D14: D1000005 00BA2510
	v_perm_b32 v63, v5, v4, s52                                // 000000007D1C: D1ED003F 00D20905
	ds_write_b64 v20, v[52:53]                                 // 000000007D24: D89A0000 00003414
	ds_write_b64 v20, v[54:55] offset:4352                     // 000000007D2C: D89A1100 00003614
	ds_write_b64 v20, v[56:57] offset:8704                     // 000000007D34: D89A2200 00003814
	ds_write_b64 v20, v[58:59] offset:2176                     // 000000007D3C: D89A0880 00003A14
	ds_write_b64 v20, v[60:61] offset:6528                     // 000000007D44: D89A1980 00003C14
	ds_write_b64 v20, v[62:63] offset:10880                    // 000000007D4C: D89A2A80 00003E14
	v_lshrrev_b32_e32 v4, 5, v0                                // 000000007D54: 20080085
	v_xor_b32_e32 v5, 1, v4                                    // 000000007D58: 2A0A0881
	s_mul_i32 s60, s65, 2                                      // 000000007D5C: 923C8241
	s_cmp_eq_u32 s88, 0                                        // 000000007D60: BF068058
	s_cselect_b32 s61, 1, 4                                    // 000000007D64: 853D8481
	s_mul_i32 s60, s61, s60                                    // 000000007D68: 923C3C3D
	v_readlane_b32 s82, v3, 0                                  // 000000007D6C: D2890052 00010103
	s_lshr_b32 s61, s82, 24                                    // 000000007D74: 8F3D9852
	s_and_b32 s82, s82, 0xffffff                               // 000000007D78: 8652FF52 00FFFFFF
	s_mul_i32 s82, s82, s71                                    // 000000007D80: 92524752
	s_mul_i32 s61, s60, s61                                    // 000000007D84: 923D3D3C
	s_add_u32 s82, s82, s61                                    // 000000007D88: 80523D52
	v_mul_lo_u32 v6, v5, s82                                   // 000000007D8C: D2850006 0000A505
	v_readlane_b32 s82, v3, 1                                  // 000000007D94: D2890052 00010303
	s_lshr_b32 s61, s82, 24                                    // 000000007D9C: 8F3D9852
	s_and_b32 s82, s82, 0xffffff                               // 000000007DA0: 8652FF52 00FFFFFF
	s_mul_i32 s82, s82, s71                                    // 000000007DA8: 92524752
	s_mul_i32 s61, s60, s61                                    // 000000007DAC: 923D3D3C
	s_add_u32 s82, s82, s61                                    // 000000007DB0: 80523D52
	v_mul_lo_u32 v7, v4, s82                                   // 000000007DB4: D2850007 0000A504
	v_add_u32_e32 v42, v6, v7                                  // 000000007DBC: 68540F06
	v_readlane_b32 s82, v3, 2                                  // 000000007DC0: D2890052 00010503
	s_lshr_b32 s61, s82, 24                                    // 000000007DC8: 8F3D9852
	s_and_b32 s82, s82, 0xffffff                               // 000000007DCC: 8652FF52 00FFFFFF
	s_mul_i32 s82, s82, s71                                    // 000000007DD4: 92524752
	s_mul_i32 s61, s60, s61                                    // 000000007DD8: 923D3D3C
	s_add_u32 s82, s82, s61                                    // 000000007DDC: 80523D52
	v_mul_lo_u32 v6, v5, s82                                   // 000000007DE0: D2850006 0000A505
	v_readlane_b32 s82, v3, 3                                  // 000000007DE8: D2890052 00010703
	s_lshr_b32 s61, s82, 24                                    // 000000007DF0: 8F3D9852
	s_and_b32 s82, s82, 0xffffff                               // 000000007DF4: 8652FF52 00FFFFFF
	s_mul_i32 s82, s82, s71                                    // 000000007DFC: 92524752
	s_mul_i32 s61, s60, s61                                    // 000000007E00: 923D3D3C
	s_add_u32 s82, s82, s61                                    // 000000007E04: 80523D52
	v_mul_lo_u32 v7, v4, s82                                   // 000000007E08: D2850007 0000A504
	v_add_u32_e32 v43, v6, v7                                  // 000000007E10: 68560F06
	v_readlane_b32 s82, v3, 4                                  // 000000007E14: D2890052 00010903
	s_lshr_b32 s61, s82, 24                                    // 000000007E1C: 8F3D9852
	s_and_b32 s82, s82, 0xffffff                               // 000000007E20: 8652FF52 00FFFFFF
	s_mul_i32 s82, s82, s71                                    // 000000007E28: 92524752
	s_mul_i32 s61, s60, s61                                    // 000000007E2C: 923D3D3C
	s_add_u32 s82, s82, s61                                    // 000000007E30: 80523D52
	v_mul_lo_u32 v6, v5, s82                                   // 000000007E34: D2850006 0000A505
	v_readlane_b32 s82, v3, 5                                  // 000000007E3C: D2890052 00010B03
	s_lshr_b32 s61, s82, 24                                    // 000000007E44: 8F3D9852
	s_and_b32 s82, s82, 0xffffff                               // 000000007E48: 8652FF52 00FFFFFF
	s_mul_i32 s82, s82, s71                                    // 000000007E50: 92524752
	s_mul_i32 s61, s60, s61                                    // 000000007E54: 923D3D3C
	s_add_u32 s82, s82, s61                                    // 000000007E58: 80523D52
	v_mul_lo_u32 v7, v4, s82                                   // 000000007E5C: D2850007 0000A504
	v_add_u32_e32 v44, v6, v7                                  // 000000007E64: 68580F06
	v_readlane_b32 s82, v3, 6                                  // 000000007E68: D2890052 00010D03
	s_lshr_b32 s61, s82, 24                                    // 000000007E70: 8F3D9852
	s_and_b32 s82, s82, 0xffffff                               // 000000007E74: 8652FF52 00FFFFFF
	s_mul_i32 s82, s82, s71                                    // 000000007E7C: 92524752
	s_mul_i32 s61, s60, s61                                    // 000000007E80: 923D3D3C
	s_add_u32 s82, s82, s61                                    // 000000007E84: 80523D52
	v_mul_lo_u32 v6, v5, s82                                   // 000000007E88: D2850006 0000A505
	v_readlane_b32 s82, v3, 7                                  // 000000007E90: D2890052 00010F03
	s_lshr_b32 s61, s82, 24                                    // 000000007E98: 8F3D9852
	s_and_b32 s82, s82, 0xffffff                               // 000000007E9C: 8652FF52 00FFFFFF
	s_mul_i32 s82, s82, s71                                    // 000000007EA4: 92524752
	s_mul_i32 s61, s60, s61                                    // 000000007EA8: 923D3D3C
	s_add_u32 s82, s82, s61                                    // 000000007EAC: 80523D52
	v_mul_lo_u32 v7, v4, s82                                   // 000000007EB0: D2850007 0000A504
	v_add_u32_e32 v45, v6, v7                                  // 000000007EB8: 685A0F06
	v_readlane_b32 s82, v3, 8                                  // 000000007EBC: D2890052 00011103
	s_lshr_b32 s61, s82, 24                                    // 000000007EC4: 8F3D9852
	s_and_b32 s82, s82, 0xffffff                               // 000000007EC8: 8652FF52 00FFFFFF
	s_mul_i32 s82, s82, s71                                    // 000000007ED0: 92524752
	s_mul_i32 s61, s60, s61                                    // 000000007ED4: 923D3D3C
	s_add_u32 s82, s82, s61                                    // 000000007ED8: 80523D52
	v_mul_lo_u32 v6, v5, s82                                   // 000000007EDC: D2850006 0000A505
	v_readlane_b32 s82, v3, 9                                  // 000000007EE4: D2890052 00011303
	s_lshr_b32 s61, s82, 24                                    // 000000007EEC: 8F3D9852
	s_and_b32 s82, s82, 0xffffff                               // 000000007EF0: 8652FF52 00FFFFFF
	s_mul_i32 s82, s82, s71                                    // 000000007EF8: 92524752
	s_mul_i32 s61, s60, s61                                    // 000000007EFC: 923D3D3C
	s_add_u32 s82, s82, s61                                    // 000000007F00: 80523D52
	v_mul_lo_u32 v7, v4, s82                                   // 000000007F04: D2850007 0000A504
	v_add_u32_e32 v46, v6, v7                                  // 000000007F0C: 685C0F06
	v_readlane_b32 s82, v3, 10                                 // 000000007F10: D2890052 00011503
	s_lshr_b32 s61, s82, 24                                    // 000000007F18: 8F3D9852
	s_and_b32 s82, s82, 0xffffff                               // 000000007F1C: 8652FF52 00FFFFFF
	s_mul_i32 s82, s82, s71                                    // 000000007F24: 92524752
	s_mul_i32 s61, s60, s61                                    // 000000007F28: 923D3D3C
	s_add_u32 s82, s82, s61                                    // 000000007F2C: 80523D52
	v_mul_lo_u32 v6, v5, s82                                   // 000000007F30: D2850006 0000A505
	v_readlane_b32 s82, v3, 11                                 // 000000007F38: D2890052 00011703
	s_lshr_b32 s61, s82, 24                                    // 000000007F40: 8F3D9852
	s_and_b32 s82, s82, 0xffffff                               // 000000007F44: 8652FF52 00FFFFFF
	s_mul_i32 s82, s82, s71                                    // 000000007F4C: 92524752
	s_mul_i32 s61, s60, s61                                    // 000000007F50: 923D3D3C
	s_add_u32 s82, s82, s61                                    // 000000007F54: 80523D52
	v_mul_lo_u32 v7, v4, s82                                   // 000000007F58: D2850007 0000A504
	v_add_u32_e32 v47, v6, v7                                  // 000000007F60: 685E0F06
	v_and_b32_e32 v4, 31, v0                                   // 000000007F64: 2608009F
	v_lshrrev_b32_e32 v4, 1, v4                                // 000000007F68: 20080881
	s_cmp_eq_u32 s88, 0                                        // 000000007F6C: BF068058
	s_cselect_b32 s61, 2, 4                                    // 000000007F70: 853D8482
	v_mul_lo_u32 v4, v4, s61                                   // 000000007F74: D2850004 00007B04
	v_and_b32_e64 v5, v0, 1                                    // 000000007F7C: D1130005 00010300
	v_add_u32_e32 v4, v4, v5                                   // 000000007F84: 68080B04
	v_lshlrev_b32_e32 v4, 2, v4                                // 000000007F88: 24080882
	v_add_u32_e32 v42, v42, v4                                 // 000000007F8C: 6854092A
	v_add_u32_e32 v43, v43, v4                                 // 000000007F90: 6856092B
	v_add_u32_e32 v44, v44, v4                                 // 000000007F94: 6858092C
	v_add_u32_e32 v45, v45, v4                                 // 000000007F98: 685A092D
	v_add_u32_e32 v46, v46, v4                                 // 000000007F9C: 685C092E
	v_add_u32_e32 v47, v47, v4                                 // 000000007FA0: 685E092F
	s_waitcnt lgkmcnt(0)                                       // 000000007FA4: BF8CC07F
	s_barrier                                                  // 000000007FA8: BF8A0000
	ds_read_b32 v52, v21                                       // 000000007FAC: D86C0000 34000015
	ds_read_b32 v53, v21 offset:64                             // 000000007FB4: D86C0040 35000015
	ds_read_b32 v54, v21 offset:2176                           // 000000007FBC: D86C0880 36000015
	ds_read_b32 v55, v21 offset:2240                           // 000000007FC4: D86C08C0 37000015
	ds_read_b32 v56, v21 offset:4352                           // 000000007FCC: D86C1100 38000015
	ds_read_b32 v57, v21 offset:4416                           // 000000007FD4: D86C1140 39000015
	ds_read_b32 v58, v21 offset:6528                           // 000000007FDC: D86C1980 3A000015
	ds_read_b32 v59, v21 offset:6592                           // 000000007FE4: D86C19C0 3B000015
	ds_read_b32 v60, v21 offset:8704                           // 000000007FEC: D86C2200 3C000015
	ds_read_b32 v61, v21 offset:8768                           // 000000007FF4: D86C2240 3D000015
	ds_read_b32 v62, v21 offset:10880                          // 000000007FFC: D86C2A80 3E000015
	ds_read_b32 v63, v21 offset:10944                          // 000000008004: D86C2AC0 3F000015
	s_waitcnt lgkmcnt(0)                                       // 00000000800C: BF8CC07F
	s_mov_b32 s36, -1                                          // 000000008010: BEA400C1
	s_mov_b32 s37, -1                                          // 000000008014: BEA500C1
	v_mov_b32_e32 v7, 0                                        // 000000008018: 7E0E0280
	s_or_b32 s9, s9, 0x40000                                   // 00000000801C: 8709FF09 00040000
	s_mov_b64 exec, s[36:37]                                   // 000000008024: BEFE0124
	v_mov_b32_e32 v6, v42                                      // 000000008028: 7E0C032A
	s_mov_b64 s[60:61], 0                                      // 00000000802C: BEBC0180
	v_readlane_b32 s82, v3, 0                                  // 000000008030: D2890052 00010103
	s_and_b32 s82, s82, 0xffffff                               // 000000008038: 8652FF52 00FFFFFF
	s_cmp_lt_u32 s82, s66                                      // 000000008040: BF0A4252
	s_cselect_b32 s20, s36, s60                                // 000000008044: 85143C24
	v_readlane_b32 s82, v3, 1                                  // 000000008048: D2890052 00010303
	s_and_b32 s82, s82, 0xffffff                               // 000000008050: 8652FF52 00FFFFFF
	s_cmp_lt_u32 s82, s66                                      // 000000008058: BF0A4252
	s_cselect_b32 s21, s36, s60                                // 00000000805C: 85153C24
	s_mov_b64 exec, s[20:21]                                   // 000000008060: BEFE0114
	buffer_store_dword v52, v6, s[8:11], 0 offen               // 000000008064: E0701000 80023406
	buffer_store_dword v54, v6, s[8:11], 0 offen offset:128    // 00000000806C: E0701080 80023606
	s_mov_b64 exec, s[36:37]                                   // 000000008074: BEFE0124
	v_mov_b32_e32 v6, v43                                      // 000000008078: 7E0C032B
	s_mov_b64 s[60:61], 0                                      // 00000000807C: BEBC0180
	v_readlane_b32 s82, v3, 2                                  // 000000008080: D2890052 00010503
	s_and_b32 s82, s82, 0xffffff                               // 000000008088: 8652FF52 00FFFFFF
	s_cmp_lt_u32 s82, s66                                      // 000000008090: BF0A4252
	s_cselect_b32 s20, s36, s60                                // 000000008094: 85143C24
	v_readlane_b32 s82, v3, 3                                  // 000000008098: D2890052 00010703
	s_and_b32 s82, s82, 0xffffff                               // 0000000080A0: 8652FF52 00FFFFFF
	s_cmp_lt_u32 s82, s66                                      // 0000000080A8: BF0A4252
	s_cselect_b32 s21, s36, s60                                // 0000000080AC: 85153C24
	s_mov_b64 exec, s[20:21]                                   // 0000000080B0: BEFE0114
	buffer_store_dword v53, v6, s[8:11], 0 offen               // 0000000080B4: E0701000 80023506
	buffer_store_dword v55, v6, s[8:11], 0 offen offset:128    // 0000000080BC: E0701080 80023706
	s_mov_b64 exec, s[36:37]                                   // 0000000080C4: BEFE0124
	v_mov_b32_e32 v6, v44                                      // 0000000080C8: 7E0C032C
	s_mov_b64 s[60:61], 0                                      // 0000000080CC: BEBC0180
	v_readlane_b32 s82, v3, 4                                  // 0000000080D0: D2890052 00010903
	s_and_b32 s82, s82, 0xffffff                               // 0000000080D8: 8652FF52 00FFFFFF
	s_cmp_lt_u32 s82, s66                                      // 0000000080E0: BF0A4252
	s_cselect_b32 s20, s36, s60                                // 0000000080E4: 85143C24
	v_readlane_b32 s82, v3, 5                                  // 0000000080E8: D2890052 00010B03
	s_and_b32 s82, s82, 0xffffff                               // 0000000080F0: 8652FF52 00FFFFFF
	s_cmp_lt_u32 s82, s66                                      // 0000000080F8: BF0A4252
	s_cselect_b32 s21, s36, s60                                // 0000000080FC: 85153C24
	s_mov_b64 exec, s[20:21]                                   // 000000008100: BEFE0114
	buffer_store_dword v56, v6, s[8:11], 0 offen               // 000000008104: E0701000 80023806
	buffer_store_dword v58, v6, s[8:11], 0 offen offset:128    // 00000000810C: E0701080 80023A06
	s_mov_b64 exec, s[36:37]                                   // 000000008114: BEFE0124
	v_mov_b32_e32 v6, v45                                      // 000000008118: 7E0C032D
	s_mov_b64 s[60:61], 0                                      // 00000000811C: BEBC0180
	v_readlane_b32 s82, v3, 6                                  // 000000008120: D2890052 00010D03
	s_and_b32 s82, s82, 0xffffff                               // 000000008128: 8652FF52 00FFFFFF
	s_cmp_lt_u32 s82, s66                                      // 000000008130: BF0A4252
	s_cselect_b32 s20, s36, s60                                // 000000008134: 85143C24
	v_readlane_b32 s82, v3, 7                                  // 000000008138: D2890052 00010F03
	s_and_b32 s82, s82, 0xffffff                               // 000000008140: 8652FF52 00FFFFFF
	s_cmp_lt_u32 s82, s66                                      // 000000008148: BF0A4252
	s_cselect_b32 s21, s36, s60                                // 00000000814C: 85153C24
	s_mov_b64 exec, s[20:21]                                   // 000000008150: BEFE0114
	buffer_store_dword v57, v6, s[8:11], 0 offen               // 000000008154: E0701000 80023906
	buffer_store_dword v59, v6, s[8:11], 0 offen offset:128    // 00000000815C: E0701080 80023B06
	s_mov_b64 exec, s[36:37]                                   // 000000008164: BEFE0124
	v_mov_b32_e32 v6, v46                                      // 000000008168: 7E0C032E
	s_mov_b64 s[60:61], 0                                      // 00000000816C: BEBC0180
	v_readlane_b32 s82, v3, 8                                  // 000000008170: D2890052 00011103
	s_and_b32 s82, s82, 0xffffff                               // 000000008178: 8652FF52 00FFFFFF
	s_cmp_lt_u32 s82, s66                                      // 000000008180: BF0A4252
	s_cselect_b32 s20, s36, s60                                // 000000008184: 85143C24
	v_readlane_b32 s82, v3, 9                                  // 000000008188: D2890052 00011303
	s_and_b32 s82, s82, 0xffffff                               // 000000008190: 8652FF52 00FFFFFF
	s_cmp_lt_u32 s82, s66                                      // 000000008198: BF0A4252
	s_cselect_b32 s21, s36, s60                                // 00000000819C: 85153C24
	s_mov_b64 exec, s[20:21]                                   // 0000000081A0: BEFE0114
	buffer_store_dword v60, v6, s[8:11], 0 offen               // 0000000081A4: E0701000 80023C06
	buffer_store_dword v62, v6, s[8:11], 0 offen offset:128    // 0000000081AC: E0701080 80023E06
	s_mov_b64 exec, s[36:37]                                   // 0000000081B4: BEFE0124
	v_mov_b32_e32 v6, v47                                      // 0000000081B8: 7E0C032F
	s_mov_b64 s[60:61], 0                                      // 0000000081BC: BEBC0180
	v_readlane_b32 s82, v3, 10                                 // 0000000081C0: D2890052 00011503
	s_and_b32 s82, s82, 0xffffff                               // 0000000081C8: 8652FF52 00FFFFFF
	s_cmp_lt_u32 s82, s66                                      // 0000000081D0: BF0A4252
	s_cselect_b32 s20, s36, s60                                // 0000000081D4: 85143C24
	v_readlane_b32 s82, v3, 11                                 // 0000000081D8: D2890052 00011703
	s_and_b32 s82, s82, 0xffffff                               // 0000000081E0: 8652FF52 00FFFFFF
	s_cmp_lt_u32 s82, s66                                      // 0000000081E8: BF0A4252
	s_cselect_b32 s21, s36, s60                                // 0000000081EC: 85153C24
	s_mov_b64 exec, s[20:21]                                   // 0000000081F0: BEFE0114
	buffer_store_dword v61, v6, s[8:11], 0 offen               // 0000000081F4: E0701000 80023D06
	buffer_store_dword v63, v6, s[8:11], 0 offen offset:128    // 0000000081FC: E0701080 80023F06
	s_mov_b64 exec, s[36:37]                                   // 000000008204: BEFE0124
	s_branch label_1924                                        // 000000008208: BF82031E

000000000000820c <label_1606>:
	ds_write_b64 v20, v[52:53]                                 // 00000000820C: D89A0000 00003414
	ds_write_b64 v20, v[56:57] offset:4352                     // 000000008214: D89A1100 00003814
	ds_write_b64 v20, v[60:61] offset:8704                     // 00000000821C: D89A2200 00003C14
	ds_write_b64 v20, v[64:65] offset:2176                     // 000000008224: D89A0880 00004014
	ds_write_b64 v20, v[68:69] offset:6528                     // 00000000822C: D89A1980 00004414
	ds_write_b64 v20, v[72:73] offset:10880                    // 000000008234: D89A2A80 00004814
	v_lshrrev_b32_e32 v4, 5, v0                                // 00000000823C: 20080085
	v_xor_b32_e32 v5, 1, v4                                    // 000000008240: 2A0A0881
	s_mul_i32 s60, s65, 2                                      // 000000008244: 923C8241
	s_cmp_eq_u32 s88, 0                                        // 000000008248: BF068058
	s_cselect_b32 s61, 1, 4                                    // 00000000824C: 853D8481
	s_mul_i32 s60, s61, s60                                    // 000000008250: 923C3C3D
	v_readlane_b32 s82, v3, 0                                  // 000000008254: D2890052 00010103
	s_lshr_b32 s61, s82, 24                                    // 00000000825C: 8F3D9852
	s_and_b32 s82, s82, 0xffffff                               // 000000008260: 8652FF52 00FFFFFF
	s_mul_i32 s82, s82, s71                                    // 000000008268: 92524752
	s_mul_i32 s61, s60, s61                                    // 00000000826C: 923D3D3C
	s_add_u32 s82, s82, s61                                    // 000000008270: 80523D52
	v_mul_lo_u32 v6, v5, s82                                   // 000000008274: D2850006 0000A505
	v_readlane_b32 s82, v3, 1                                  // 00000000827C: D2890052 00010303
	s_lshr_b32 s61, s82, 24                                    // 000000008284: 8F3D9852
	s_and_b32 s82, s82, 0xffffff                               // 000000008288: 8652FF52 00FFFFFF
	s_mul_i32 s82, s82, s71                                    // 000000008290: 92524752
	s_mul_i32 s61, s60, s61                                    // 000000008294: 923D3D3C
	s_add_u32 s82, s82, s61                                    // 000000008298: 80523D52
	v_mul_lo_u32 v7, v4, s82                                   // 00000000829C: D2850007 0000A504
	v_add_u32_e32 v42, v6, v7                                  // 0000000082A4: 68540F06
	v_readlane_b32 s82, v3, 2                                  // 0000000082A8: D2890052 00010503
	s_lshr_b32 s61, s82, 24                                    // 0000000082B0: 8F3D9852
	s_and_b32 s82, s82, 0xffffff                               // 0000000082B4: 8652FF52 00FFFFFF
	s_mul_i32 s82, s82, s71                                    // 0000000082BC: 92524752
	s_mul_i32 s61, s60, s61                                    // 0000000082C0: 923D3D3C
	s_add_u32 s82, s82, s61                                    // 0000000082C4: 80523D52
	v_mul_lo_u32 v6, v5, s82                                   // 0000000082C8: D2850006 0000A505
	v_readlane_b32 s82, v3, 3                                  // 0000000082D0: D2890052 00010703
	s_lshr_b32 s61, s82, 24                                    // 0000000082D8: 8F3D9852
	s_and_b32 s82, s82, 0xffffff                               // 0000000082DC: 8652FF52 00FFFFFF
	s_mul_i32 s82, s82, s71                                    // 0000000082E4: 92524752
	s_mul_i32 s61, s60, s61                                    // 0000000082E8: 923D3D3C
	s_add_u32 s82, s82, s61                                    // 0000000082EC: 80523D52
	v_mul_lo_u32 v7, v4, s82                                   // 0000000082F0: D2850007 0000A504
	v_add_u32_e32 v43, v6, v7                                  // 0000000082F8: 68560F06
	v_readlane_b32 s82, v3, 4                                  // 0000000082FC: D2890052 00010903
	s_lshr_b32 s61, s82, 24                                    // 000000008304: 8F3D9852
	s_and_b32 s82, s82, 0xffffff                               // 000000008308: 8652FF52 00FFFFFF
	s_mul_i32 s82, s82, s71                                    // 000000008310: 92524752
	s_mul_i32 s61, s60, s61                                    // 000000008314: 923D3D3C
	s_add_u32 s82, s82, s61                                    // 000000008318: 80523D52
	v_mul_lo_u32 v6, v5, s82                                   // 00000000831C: D2850006 0000A505
	v_readlane_b32 s82, v3, 5                                  // 000000008324: D2890052 00010B03
	s_lshr_b32 s61, s82, 24                                    // 00000000832C: 8F3D9852
	s_and_b32 s82, s82, 0xffffff                               // 000000008330: 8652FF52 00FFFFFF
	s_mul_i32 s82, s82, s71                                    // 000000008338: 92524752
	s_mul_i32 s61, s60, s61                                    // 00000000833C: 923D3D3C
	s_add_u32 s82, s82, s61                                    // 000000008340: 80523D52
	v_mul_lo_u32 v7, v4, s82                                   // 000000008344: D2850007 0000A504
	v_add_u32_e32 v44, v6, v7                                  // 00000000834C: 68580F06
	v_readlane_b32 s82, v3, 6                                  // 000000008350: D2890052 00010D03
	s_lshr_b32 s61, s82, 24                                    // 000000008358: 8F3D9852
	s_and_b32 s82, s82, 0xffffff                               // 00000000835C: 8652FF52 00FFFFFF
	s_mul_i32 s82, s82, s71                                    // 000000008364: 92524752
	s_mul_i32 s61, s60, s61                                    // 000000008368: 923D3D3C
	s_add_u32 s82, s82, s61                                    // 00000000836C: 80523D52
	v_mul_lo_u32 v6, v5, s82                                   // 000000008370: D2850006 0000A505
	v_readlane_b32 s82, v3, 7                                  // 000000008378: D2890052 00010F03
	s_lshr_b32 s61, s82, 24                                    // 000000008380: 8F3D9852
	s_and_b32 s82, s82, 0xffffff                               // 000000008384: 8652FF52 00FFFFFF
	s_mul_i32 s82, s82, s71                                    // 00000000838C: 92524752
	s_mul_i32 s61, s60, s61                                    // 000000008390: 923D3D3C
	s_add_u32 s82, s82, s61                                    // 000000008394: 80523D52
	v_mul_lo_u32 v7, v4, s82                                   // 000000008398: D2850007 0000A504
	v_add_u32_e32 v45, v6, v7                                  // 0000000083A0: 685A0F06
	v_readlane_b32 s82, v3, 8                                  // 0000000083A4: D2890052 00011103
	s_lshr_b32 s61, s82, 24                                    // 0000000083AC: 8F3D9852
	s_and_b32 s82, s82, 0xffffff                               // 0000000083B0: 8652FF52 00FFFFFF
	s_mul_i32 s82, s82, s71                                    // 0000000083B8: 92524752
	s_mul_i32 s61, s60, s61                                    // 0000000083BC: 923D3D3C
	s_add_u32 s82, s82, s61                                    // 0000000083C0: 80523D52
	v_mul_lo_u32 v6, v5, s82                                   // 0000000083C4: D2850006 0000A505
	v_readlane_b32 s82, v3, 9                                  // 0000000083CC: D2890052 00011303
	s_lshr_b32 s61, s82, 24                                    // 0000000083D4: 8F3D9852
	s_and_b32 s82, s82, 0xffffff                               // 0000000083D8: 8652FF52 00FFFFFF
	s_mul_i32 s82, s82, s71                                    // 0000000083E0: 92524752
	s_mul_i32 s61, s60, s61                                    // 0000000083E4: 923D3D3C
	s_add_u32 s82, s82, s61                                    // 0000000083E8: 80523D52
	v_mul_lo_u32 v7, v4, s82                                   // 0000000083EC: D2850007 0000A504
	v_add_u32_e32 v46, v6, v7                                  // 0000000083F4: 685C0F06
	v_readlane_b32 s82, v3, 10                                 // 0000000083F8: D2890052 00011503
	s_lshr_b32 s61, s82, 24                                    // 000000008400: 8F3D9852
	s_and_b32 s82, s82, 0xffffff                               // 000000008404: 8652FF52 00FFFFFF
	s_mul_i32 s82, s82, s71                                    // 00000000840C: 92524752
	s_mul_i32 s61, s60, s61                                    // 000000008410: 923D3D3C
	s_add_u32 s82, s82, s61                                    // 000000008414: 80523D52
	v_mul_lo_u32 v6, v5, s82                                   // 000000008418: D2850006 0000A505
	v_readlane_b32 s82, v3, 11                                 // 000000008420: D2890052 00011703
	s_lshr_b32 s61, s82, 24                                    // 000000008428: 8F3D9852
	s_and_b32 s82, s82, 0xffffff                               // 00000000842C: 8652FF52 00FFFFFF
	s_mul_i32 s82, s82, s71                                    // 000000008434: 92524752
	s_mul_i32 s61, s60, s61                                    // 000000008438: 923D3D3C
	s_add_u32 s82, s82, s61                                    // 00000000843C: 80523D52
	v_mul_lo_u32 v7, v4, s82                                   // 000000008440: D2850007 0000A504
	v_add_u32_e32 v47, v6, v7                                  // 000000008448: 685E0F06
	v_and_b32_e32 v4, 31, v0                                   // 00000000844C: 2608009F
	v_lshrrev_b32_e32 v4, 1, v4                                // 000000008450: 20080881
	s_cmp_eq_u32 s88, 0                                        // 000000008454: BF068058
	s_cselect_b32 s61, 2, 4                                    // 000000008458: 853D8482
	v_mul_lo_u32 v4, v4, s61                                   // 00000000845C: D2850004 00007B04
	v_and_b32_e64 v5, v0, 1                                    // 000000008464: D1130005 00010300
	v_add_u32_e32 v4, v4, v5                                   // 00000000846C: 68080B04
	v_lshlrev_b32_e32 v4, 2, v4                                // 000000008470: 24080882
	v_add_u32_e32 v42, v42, v4                                 // 000000008474: 6854092A
	v_add_u32_e32 v43, v43, v4                                 // 000000008478: 6856092B
	v_add_u32_e32 v44, v44, v4                                 // 00000000847C: 6858092C
	v_add_u32_e32 v45, v45, v4                                 // 000000008480: 685A092D
	v_add_u32_e32 v46, v46, v4                                 // 000000008484: 685C092E
	v_add_u32_e32 v47, v47, v4                                 // 000000008488: 685E092F
	s_waitcnt lgkmcnt(0)                                       // 00000000848C: BF8CC07F
	s_barrier                                                  // 000000008490: BF8A0000
	ds_read_b32 v52, v21                                       // 000000008494: D86C0000 34000015
	ds_read_b32 v53, v21 offset:64                             // 00000000849C: D86C0040 35000015
	ds_read_b32 v56, v21 offset:2176                           // 0000000084A4: D86C0880 38000015
	ds_read_b32 v57, v21 offset:2240                           // 0000000084AC: D86C08C0 39000015
	ds_read_b32 v60, v21 offset:4352                           // 0000000084B4: D86C1100 3C000015
	ds_read_b32 v61, v21 offset:4416                           // 0000000084BC: D86C1140 3D000015
	ds_read_b32 v64, v21 offset:6528                           // 0000000084C4: D86C1980 40000015
	ds_read_b32 v65, v21 offset:6592                           // 0000000084CC: D86C19C0 41000015
	ds_read_b32 v68, v21 offset:8704                           // 0000000084D4: D86C2200 44000015
	ds_read_b32 v69, v21 offset:8768                           // 0000000084DC: D86C2240 45000015
	ds_read_b32 v72, v21 offset:10880                          // 0000000084E4: D86C2A80 48000015
	ds_read_b32 v73, v21 offset:10944                          // 0000000084EC: D86C2AC0 49000015
	s_waitcnt lgkmcnt(0)                                       // 0000000084F4: BF8CC07F
	s_mov_b32 s36, -1                                          // 0000000084F8: BEA400C1
	s_mov_b32 s37, -1                                          // 0000000084FC: BEA500C1
	v_mov_b32_e32 v7, 0                                        // 000000008500: 7E0E0280
	s_mov_b64 exec, s[36:37]                                   // 000000008504: BEFE0124
	v_mov_b32_e32 v6, v42                                      // 000000008508: 7E0C032A
	s_mov_b64 s[60:61], 0                                      // 00000000850C: BEBC0180
	v_readlane_b32 s82, v3, 0                                  // 000000008510: D2890052 00010103
	s_and_b32 s82, s82, 0xffffff                               // 000000008518: 8652FF52 00FFFFFF
	s_cmp_lt_u32 s82, s66                                      // 000000008520: BF0A4252
	s_cselect_b32 s20, s36, s60                                // 000000008524: 85143C24
	v_readlane_b32 s82, v3, 1                                  // 000000008528: D2890052 00010303
	s_and_b32 s82, s82, 0xffffff                               // 000000008530: 8652FF52 00FFFFFF
	s_cmp_lt_u32 s82, s66                                      // 000000008538: BF0A4252
	s_cselect_b32 s21, s36, s60                                // 00000000853C: 85153C24
	s_mov_b64 exec, s[20:21]                                   // 000000008540: BEFE0114
	global_atomic_add_f32 v6, v52, s[8:9]                      // 000000008544: DD348000 00083406
	global_atomic_add_f32 v6, v56, s[8:9] offset:256           // 00000000854C: DD348100 00083806
	s_mov_b64 exec, s[36:37]                                   // 000000008554: BEFE0124
	v_mov_b32_e32 v6, v43                                      // 000000008558: 7E0C032B
	s_mov_b64 s[60:61], 0                                      // 00000000855C: BEBC0180
	v_readlane_b32 s82, v3, 2                                  // 000000008560: D2890052 00010503
	s_and_b32 s82, s82, 0xffffff                               // 000000008568: 8652FF52 00FFFFFF
	s_cmp_lt_u32 s82, s66                                      // 000000008570: BF0A4252
	s_cselect_b32 s20, s36, s60                                // 000000008574: 85143C24
	v_readlane_b32 s82, v3, 3                                  // 000000008578: D2890052 00010703
	s_and_b32 s82, s82, 0xffffff                               // 000000008580: 8652FF52 00FFFFFF
	s_cmp_lt_u32 s82, s66                                      // 000000008588: BF0A4252
	s_cselect_b32 s21, s36, s60                                // 00000000858C: 85153C24
	s_mov_b64 exec, s[20:21]                                   // 000000008590: BEFE0114
	global_atomic_add_f32 v6, v53, s[8:9]                      // 000000008594: DD348000 00083506
	global_atomic_add_f32 v6, v57, s[8:9] offset:256           // 00000000859C: DD348100 00083906
	s_mov_b64 exec, s[36:37]                                   // 0000000085A4: BEFE0124
	v_mov_b32_e32 v6, v44                                      // 0000000085A8: 7E0C032C
	s_mov_b64 s[60:61], 0                                      // 0000000085AC: BEBC0180
	v_readlane_b32 s82, v3, 4                                  // 0000000085B0: D2890052 00010903
	s_and_b32 s82, s82, 0xffffff                               // 0000000085B8: 8652FF52 00FFFFFF
	s_cmp_lt_u32 s82, s66                                      // 0000000085C0: BF0A4252
	s_cselect_b32 s20, s36, s60                                // 0000000085C4: 85143C24
	v_readlane_b32 s82, v3, 5                                  // 0000000085C8: D2890052 00010B03
	s_and_b32 s82, s82, 0xffffff                               // 0000000085D0: 8652FF52 00FFFFFF
	s_cmp_lt_u32 s82, s66                                      // 0000000085D8: BF0A4252
	s_cselect_b32 s21, s36, s60                                // 0000000085DC: 85153C24
	s_mov_b64 exec, s[20:21]                                   // 0000000085E0: BEFE0114
	global_atomic_add_f32 v6, v60, s[8:9]                      // 0000000085E4: DD348000 00083C06
	global_atomic_add_f32 v6, v64, s[8:9] offset:256           // 0000000085EC: DD348100 00084006
	s_mov_b64 exec, s[36:37]                                   // 0000000085F4: BEFE0124
	v_mov_b32_e32 v6, v45                                      // 0000000085F8: 7E0C032D
	s_mov_b64 s[60:61], 0                                      // 0000000085FC: BEBC0180
	v_readlane_b32 s82, v3, 6                                  // 000000008600: D2890052 00010D03
	s_and_b32 s82, s82, 0xffffff                               // 000000008608: 8652FF52 00FFFFFF
	s_cmp_lt_u32 s82, s66                                      // 000000008610: BF0A4252
	s_cselect_b32 s20, s36, s60                                // 000000008614: 85143C24
	v_readlane_b32 s82, v3, 7                                  // 000000008618: D2890052 00010F03
	s_and_b32 s82, s82, 0xffffff                               // 000000008620: 8652FF52 00FFFFFF
	s_cmp_lt_u32 s82, s66                                      // 000000008628: BF0A4252
	s_cselect_b32 s21, s36, s60                                // 00000000862C: 85153C24
	s_mov_b64 exec, s[20:21]                                   // 000000008630: BEFE0114
	global_atomic_add_f32 v6, v61, s[8:9]                      // 000000008634: DD348000 00083D06
	global_atomic_add_f32 v6, v65, s[8:9] offset:256           // 00000000863C: DD348100 00084106
	s_mov_b64 exec, s[36:37]                                   // 000000008644: BEFE0124
	v_mov_b32_e32 v6, v46                                      // 000000008648: 7E0C032E
	s_mov_b64 s[60:61], 0                                      // 00000000864C: BEBC0180
	v_readlane_b32 s82, v3, 8                                  // 000000008650: D2890052 00011103
	s_and_b32 s82, s82, 0xffffff                               // 000000008658: 8652FF52 00FFFFFF
	s_cmp_lt_u32 s82, s66                                      // 000000008660: BF0A4252
	s_cselect_b32 s20, s36, s60                                // 000000008664: 85143C24
	v_readlane_b32 s82, v3, 9                                  // 000000008668: D2890052 00011303
	s_and_b32 s82, s82, 0xffffff                               // 000000008670: 8652FF52 00FFFFFF
	s_cmp_lt_u32 s82, s66                                      // 000000008678: BF0A4252
	s_cselect_b32 s21, s36, s60                                // 00000000867C: 85153C24
	s_mov_b64 exec, s[20:21]                                   // 000000008680: BEFE0114
	global_atomic_add_f32 v6, v68, s[8:9]                      // 000000008684: DD348000 00084406
	global_atomic_add_f32 v6, v72, s[8:9] offset:256           // 00000000868C: DD348100 00084806
	s_mov_b64 exec, s[36:37]                                   // 000000008694: BEFE0124
	v_mov_b32_e32 v6, v47                                      // 000000008698: 7E0C032F
	s_mov_b64 s[60:61], 0                                      // 00000000869C: BEBC0180
	v_readlane_b32 s82, v3, 10                                 // 0000000086A0: D2890052 00011503
	s_and_b32 s82, s82, 0xffffff                               // 0000000086A8: 8652FF52 00FFFFFF
	s_cmp_lt_u32 s82, s66                                      // 0000000086B0: BF0A4252
	s_cselect_b32 s20, s36, s60                                // 0000000086B4: 85143C24
	v_readlane_b32 s82, v3, 11                                 // 0000000086B8: D2890052 00011703
	s_and_b32 s82, s82, 0xffffff                               // 0000000086C0: 8652FF52 00FFFFFF
	s_cmp_lt_u32 s82, s66                                      // 0000000086C8: BF0A4252
	s_cselect_b32 s21, s36, s60                                // 0000000086CC: 85153C24
	s_mov_b64 exec, s[20:21]                                   // 0000000086D0: BEFE0114
	global_atomic_add_f32 v6, v69, s[8:9]                      // 0000000086D4: DD348000 00084506
	global_atomic_add_f32 v6, v73, s[8:9] offset:256           // 0000000086DC: DD348100 00084906
	s_mov_b64 exec, s[36:37]                                   // 0000000086E4: BEFE0124
	ds_write_b64 v20, v[54:55]                                 // 0000000086E8: D89A0000 00003614
	ds_write_b64 v20, v[58:59] offset:4352                     // 0000000086F0: D89A1100 00003A14
	ds_write_b64 v20, v[62:63] offset:8704                     // 0000000086F8: D89A2200 00003E14
	ds_write_b64 v20, v[66:67] offset:2176                     // 000000008700: D89A0880 00004214
	ds_write_b64 v20, v[70:71] offset:6528                     // 000000008708: D89A1980 00004614
	ds_write_b64 v20, v[74:75] offset:10880                    // 000000008710: D89A2A80 00004A14
	s_waitcnt lgkmcnt(0)                                       // 000000008718: BF8CC07F
	s_barrier                                                  // 00000000871C: BF8A0000
	ds_read_b32 v54, v21                                       // 000000008720: D86C0000 36000015
	ds_read_b32 v55, v21 offset:64                             // 000000008728: D86C0040 37000015
	ds_read_b32 v58, v21 offset:2176                           // 000000008730: D86C0880 3A000015
	ds_read_b32 v59, v21 offset:2240                           // 000000008738: D86C08C0 3B000015
	ds_read_b32 v62, v21 offset:4352                           // 000000008740: D86C1100 3E000015
	ds_read_b32 v63, v21 offset:4416                           // 000000008748: D86C1140 3F000015
	ds_read_b32 v66, v21 offset:6528                           // 000000008750: D86C1980 42000015
	ds_read_b32 v67, v21 offset:6592                           // 000000008758: D86C19C0 43000015
	ds_read_b32 v70, v21 offset:8704                           // 000000008760: D86C2200 46000015
	ds_read_b32 v71, v21 offset:8768                           // 000000008768: D86C2240 47000015
	ds_read_b32 v74, v21 offset:10880                          // 000000008770: D86C2A80 4A000015
	ds_read_b32 v75, v21 offset:10944                          // 000000008778: D86C2AC0 4B000015
	s_waitcnt lgkmcnt(0)                                       // 000000008780: BF8CC07F
	v_mov_b32_e32 v7, 0                                        // 000000008784: 7E0E0280
	s_mov_b64 exec, s[36:37]                                   // 000000008788: BEFE0124
	v_mov_b32_e32 v6, v42                                      // 00000000878C: 7E0C032A
	s_mov_b64 s[60:61], 0                                      // 000000008790: BEBC0180
	v_readlane_b32 s82, v3, 0                                  // 000000008794: D2890052 00010103
	s_and_b32 s82, s82, 0xffffff                               // 00000000879C: 8652FF52 00FFFFFF
	s_cmp_lt_u32 s82, s66                                      // 0000000087A4: BF0A4252
	s_cselect_b32 s20, s36, s60                                // 0000000087A8: 85143C24
	v_readlane_b32 s82, v3, 1                                  // 0000000087AC: D2890052 00010303
	s_and_b32 s82, s82, 0xffffff                               // 0000000087B4: 8652FF52 00FFFFFF
	s_cmp_lt_u32 s82, s66                                      // 0000000087BC: BF0A4252
	s_cselect_b32 s21, s36, s60                                // 0000000087C0: 85153C24
	s_mov_b64 exec, s[20:21]                                   // 0000000087C4: BEFE0114
	global_atomic_add_f32 v6, v54, s[8:9] offset:8             // 0000000087C8: DD348008 00083606
	global_atomic_add_f32 v6, v58, s[8:9] offset:264           // 0000000087D0: DD348108 00083A06
	s_mov_b64 exec, s[36:37]                                   // 0000000087D8: BEFE0124
	v_mov_b32_e32 v6, v43                                      // 0000000087DC: 7E0C032B
	s_mov_b64 s[60:61], 0                                      // 0000000087E0: BEBC0180
	v_readlane_b32 s82, v3, 2                                  // 0000000087E4: D2890052 00010503
	s_and_b32 s82, s82, 0xffffff                               // 0000000087EC: 8652FF52 00FFFFFF
	s_cmp_lt_u32 s82, s66                                      // 0000000087F4: BF0A4252
	s_cselect_b32 s20, s36, s60                                // 0000000087F8: 85143C24
	v_readlane_b32 s82, v3, 3                                  // 0000000087FC: D2890052 00010703
	s_and_b32 s82, s82, 0xffffff                               // 000000008804: 8652FF52 00FFFFFF
	s_cmp_lt_u32 s82, s66                                      // 00000000880C: BF0A4252
	s_cselect_b32 s21, s36, s60                                // 000000008810: 85153C24
	s_mov_b64 exec, s[20:21]                                   // 000000008814: BEFE0114
	global_atomic_add_f32 v6, v55, s[8:9] offset:8             // 000000008818: DD348008 00083706
	global_atomic_add_f32 v6, v59, s[8:9] offset:264           // 000000008820: DD348108 00083B06
	s_mov_b64 exec, s[36:37]                                   // 000000008828: BEFE0124
	v_mov_b32_e32 v6, v44                                      // 00000000882C: 7E0C032C
	s_mov_b64 s[60:61], 0                                      // 000000008830: BEBC0180
	v_readlane_b32 s82, v3, 4                                  // 000000008834: D2890052 00010903
	s_and_b32 s82, s82, 0xffffff                               // 00000000883C: 8652FF52 00FFFFFF
	s_cmp_lt_u32 s82, s66                                      // 000000008844: BF0A4252
	s_cselect_b32 s20, s36, s60                                // 000000008848: 85143C24
	v_readlane_b32 s82, v3, 5                                  // 00000000884C: D2890052 00010B03
	s_and_b32 s82, s82, 0xffffff                               // 000000008854: 8652FF52 00FFFFFF
	s_cmp_lt_u32 s82, s66                                      // 00000000885C: BF0A4252
	s_cselect_b32 s21, s36, s60                                // 000000008860: 85153C24
	s_mov_b64 exec, s[20:21]                                   // 000000008864: BEFE0114
	global_atomic_add_f32 v6, v62, s[8:9] offset:8             // 000000008868: DD348008 00083E06
	global_atomic_add_f32 v6, v66, s[8:9] offset:264           // 000000008870: DD348108 00084206
	s_mov_b64 exec, s[36:37]                                   // 000000008878: BEFE0124
	v_mov_b32_e32 v6, v45                                      // 00000000887C: 7E0C032D
	s_mov_b64 s[60:61], 0                                      // 000000008880: BEBC0180
	v_readlane_b32 s82, v3, 6                                  // 000000008884: D2890052 00010D03
	s_and_b32 s82, s82, 0xffffff                               // 00000000888C: 8652FF52 00FFFFFF
	s_cmp_lt_u32 s82, s66                                      // 000000008894: BF0A4252
	s_cselect_b32 s20, s36, s60                                // 000000008898: 85143C24
	v_readlane_b32 s82, v3, 7                                  // 00000000889C: D2890052 00010F03
	s_and_b32 s82, s82, 0xffffff                               // 0000000088A4: 8652FF52 00FFFFFF
	s_cmp_lt_u32 s82, s66                                      // 0000000088AC: BF0A4252
	s_cselect_b32 s21, s36, s60                                // 0000000088B0: 85153C24
	s_mov_b64 exec, s[20:21]                                   // 0000000088B4: BEFE0114
	global_atomic_add_f32 v6, v63, s[8:9] offset:8             // 0000000088B8: DD348008 00083F06
	global_atomic_add_f32 v6, v67, s[8:9] offset:264           // 0000000088C0: DD348108 00084306
	s_mov_b64 exec, s[36:37]                                   // 0000000088C8: BEFE0124
	v_mov_b32_e32 v6, v46                                      // 0000000088CC: 7E0C032E
	s_mov_b64 s[60:61], 0                                      // 0000000088D0: BEBC0180
	v_readlane_b32 s82, v3, 8                                  // 0000000088D4: D2890052 00011103
	s_and_b32 s82, s82, 0xffffff                               // 0000000088DC: 8652FF52 00FFFFFF
	s_cmp_lt_u32 s82, s66                                      // 0000000088E4: BF0A4252
	s_cselect_b32 s20, s36, s60                                // 0000000088E8: 85143C24
	v_readlane_b32 s82, v3, 9                                  // 0000000088EC: D2890052 00011303
	s_and_b32 s82, s82, 0xffffff                               // 0000000088F4: 8652FF52 00FFFFFF
	s_cmp_lt_u32 s82, s66                                      // 0000000088FC: BF0A4252
	s_cselect_b32 s21, s36, s60                                // 000000008900: 85153C24
	s_mov_b64 exec, s[20:21]                                   // 000000008904: BEFE0114
	global_atomic_add_f32 v6, v70, s[8:9] offset:8             // 000000008908: DD348008 00084606
	global_atomic_add_f32 v6, v74, s[8:9] offset:264           // 000000008910: DD348108 00084A06
	s_mov_b64 exec, s[36:37]                                   // 000000008918: BEFE0124
	v_mov_b32_e32 v6, v47                                      // 00000000891C: 7E0C032F
	s_mov_b64 s[60:61], 0                                      // 000000008920: BEBC0180
	v_readlane_b32 s82, v3, 10                                 // 000000008924: D2890052 00011503
	s_and_b32 s82, s82, 0xffffff                               // 00000000892C: 8652FF52 00FFFFFF
	s_cmp_lt_u32 s82, s66                                      // 000000008934: BF0A4252
	s_cselect_b32 s20, s36, s60                                // 000000008938: 85143C24
	v_readlane_b32 s82, v3, 11                                 // 00000000893C: D2890052 00011703
	s_and_b32 s82, s82, 0xffffff                               // 000000008944: 8652FF52 00FFFFFF
	s_cmp_lt_u32 s82, s66                                      // 00000000894C: BF0A4252
	s_cselect_b32 s21, s36, s60                                // 000000008950: 85153C24
	s_mov_b64 exec, s[20:21]                                   // 000000008954: BEFE0114
	global_atomic_add_f32 v6, v71, s[8:9] offset:8             // 000000008958: DD348008 00084706
	global_atomic_add_f32 v6, v75, s[8:9] offset:264           // 000000008960: DD348108 00084B06
	s_mov_b64 exec, s[36:37]                                   // 000000008968: BEFE0124
	ds_write_b64 v20, v[76:77]                                 // 00000000896C: D89A0000 00004C14
	ds_write_b64 v20, v[80:81] offset:4352                     // 000000008974: D89A1100 00005014
	ds_write_b64 v20, v[84:85] offset:8704                     // 00000000897C: D89A2200 00005414
	ds_write_b64 v20, v[88:89] offset:2176                     // 000000008984: D89A0880 00005814
	ds_write_b64 v20, v[92:93] offset:6528                     // 00000000898C: D89A1980 00005C14
	ds_write_b64 v20, v[96:97] offset:10880                    // 000000008994: D89A2A80 00006014
	s_waitcnt lgkmcnt(0)                                       // 00000000899C: BF8CC07F
	s_barrier                                                  // 0000000089A0: BF8A0000
	ds_read_b32 v76, v21                                       // 0000000089A4: D86C0000 4C000015
	ds_read_b32 v77, v21 offset:64                             // 0000000089AC: D86C0040 4D000015
	ds_read_b32 v80, v21 offset:2176                           // 0000000089B4: D86C0880 50000015
	ds_read_b32 v81, v21 offset:2240                           // 0000000089BC: D86C08C0 51000015
	ds_read_b32 v84, v21 offset:4352                           // 0000000089C4: D86C1100 54000015
	ds_read_b32 v85, v21 offset:4416                           // 0000000089CC: D86C1140 55000015
	ds_read_b32 v88, v21 offset:6528                           // 0000000089D4: D86C1980 58000015
	ds_read_b32 v89, v21 offset:6592                           // 0000000089DC: D86C19C0 59000015
	ds_read_b32 v92, v21 offset:8704                           // 0000000089E4: D86C2200 5C000015
	ds_read_b32 v93, v21 offset:8768                           // 0000000089EC: D86C2240 5D000015
	ds_read_b32 v96, v21 offset:10880                          // 0000000089F4: D86C2A80 60000015
	ds_read_b32 v97, v21 offset:10944                          // 0000000089FC: D86C2AC0 61000015
	s_mul_i32 s60, s65, 4                                      // 000000008A04: 923C8441
	s_add_u32 s8, s60, s8                                      // 000000008A08: 8008083C
	s_addc_u32 s9, 0, s9                                       // 000000008A0C: 82090980
	s_waitcnt lgkmcnt(0)                                       // 000000008A10: BF8CC07F
	v_mov_b32_e32 v7, 0                                        // 000000008A14: 7E0E0280
	s_mov_b64 exec, s[36:37]                                   // 000000008A18: BEFE0124
	v_mov_b32_e32 v6, v42                                      // 000000008A1C: 7E0C032A
	s_mov_b64 s[60:61], 0                                      // 000000008A20: BEBC0180
	v_readlane_b32 s82, v3, 0                                  // 000000008A24: D2890052 00010103
	s_and_b32 s82, s82, 0xffffff                               // 000000008A2C: 8652FF52 00FFFFFF
	s_cmp_lt_u32 s82, s66                                      // 000000008A34: BF0A4252
	s_cselect_b32 s20, s36, s60                                // 000000008A38: 85143C24
	v_readlane_b32 s82, v3, 1                                  // 000000008A3C: D2890052 00010303
	s_and_b32 s82, s82, 0xffffff                               // 000000008A44: 8652FF52 00FFFFFF
	s_cmp_lt_u32 s82, s66                                      // 000000008A4C: BF0A4252
	s_cselect_b32 s21, s36, s60                                // 000000008A50: 85153C24
	s_mov_b64 exec, s[20:21]                                   // 000000008A54: BEFE0114
	global_atomic_add_f32 v6, v76, s[8:9]                      // 000000008A58: DD348000 00084C06
	global_atomic_add_f32 v6, v80, s[8:9] offset:256           // 000000008A60: DD348100 00085006
	s_mov_b64 exec, s[36:37]                                   // 000000008A68: BEFE0124
	v_mov_b32_e32 v6, v43                                      // 000000008A6C: 7E0C032B
	s_mov_b64 s[60:61], 0                                      // 000000008A70: BEBC0180
	v_readlane_b32 s82, v3, 2                                  // 000000008A74: D2890052 00010503
	s_and_b32 s82, s82, 0xffffff                               // 000000008A7C: 8652FF52 00FFFFFF
	s_cmp_lt_u32 s82, s66                                      // 000000008A84: BF0A4252
	s_cselect_b32 s20, s36, s60                                // 000000008A88: 85143C24
	v_readlane_b32 s82, v3, 3                                  // 000000008A8C: D2890052 00010703
	s_and_b32 s82, s82, 0xffffff                               // 000000008A94: 8652FF52 00FFFFFF
	s_cmp_lt_u32 s82, s66                                      // 000000008A9C: BF0A4252
	s_cselect_b32 s21, s36, s60                                // 000000008AA0: 85153C24
	s_mov_b64 exec, s[20:21]                                   // 000000008AA4: BEFE0114
	global_atomic_add_f32 v6, v77, s[8:9]                      // 000000008AA8: DD348000 00084D06
	global_atomic_add_f32 v6, v81, s[8:9] offset:256           // 000000008AB0: DD348100 00085106
	s_mov_b64 exec, s[36:37]                                   // 000000008AB8: BEFE0124
	v_mov_b32_e32 v6, v44                                      // 000000008ABC: 7E0C032C
	s_mov_b64 s[60:61], 0                                      // 000000008AC0: BEBC0180
	v_readlane_b32 s82, v3, 4                                  // 000000008AC4: D2890052 00010903
	s_and_b32 s82, s82, 0xffffff                               // 000000008ACC: 8652FF52 00FFFFFF
	s_cmp_lt_u32 s82, s66                                      // 000000008AD4: BF0A4252
	s_cselect_b32 s20, s36, s60                                // 000000008AD8: 85143C24
	v_readlane_b32 s82, v3, 5                                  // 000000008ADC: D2890052 00010B03
	s_and_b32 s82, s82, 0xffffff                               // 000000008AE4: 8652FF52 00FFFFFF
	s_cmp_lt_u32 s82, s66                                      // 000000008AEC: BF0A4252
	s_cselect_b32 s21, s36, s60                                // 000000008AF0: 85153C24
	s_mov_b64 exec, s[20:21]                                   // 000000008AF4: BEFE0114
	global_atomic_add_f32 v6, v84, s[8:9]                      // 000000008AF8: DD348000 00085406
	global_atomic_add_f32 v6, v88, s[8:9] offset:256           // 000000008B00: DD348100 00085806
	s_mov_b64 exec, s[36:37]                                   // 000000008B08: BEFE0124
	v_mov_b32_e32 v6, v45                                      // 000000008B0C: 7E0C032D
	s_mov_b64 s[60:61], 0                                      // 000000008B10: BEBC0180
	v_readlane_b32 s82, v3, 6                                  // 000000008B14: D2890052 00010D03
	s_and_b32 s82, s82, 0xffffff                               // 000000008B1C: 8652FF52 00FFFFFF
	s_cmp_lt_u32 s82, s66                                      // 000000008B24: BF0A4252
	s_cselect_b32 s20, s36, s60                                // 000000008B28: 85143C24
	v_readlane_b32 s82, v3, 7                                  // 000000008B2C: D2890052 00010F03
	s_and_b32 s82, s82, 0xffffff                               // 000000008B34: 8652FF52 00FFFFFF
	s_cmp_lt_u32 s82, s66                                      // 000000008B3C: BF0A4252
	s_cselect_b32 s21, s36, s60                                // 000000008B40: 85153C24
	s_mov_b64 exec, s[20:21]                                   // 000000008B44: BEFE0114
	global_atomic_add_f32 v6, v85, s[8:9]                      // 000000008B48: DD348000 00085506
	global_atomic_add_f32 v6, v89, s[8:9] offset:256           // 000000008B50: DD348100 00085906
	s_mov_b64 exec, s[36:37]                                   // 000000008B58: BEFE0124
	v_mov_b32_e32 v6, v46                                      // 000000008B5C: 7E0C032E
	s_mov_b64 s[60:61], 0                                      // 000000008B60: BEBC0180
	v_readlane_b32 s82, v3, 8                                  // 000000008B64: D2890052 00011103
	s_and_b32 s82, s82, 0xffffff                               // 000000008B6C: 8652FF52 00FFFFFF
	s_cmp_lt_u32 s82, s66                                      // 000000008B74: BF0A4252
	s_cselect_b32 s20, s36, s60                                // 000000008B78: 85143C24
	v_readlane_b32 s82, v3, 9                                  // 000000008B7C: D2890052 00011303
	s_and_b32 s82, s82, 0xffffff                               // 000000008B84: 8652FF52 00FFFFFF
	s_cmp_lt_u32 s82, s66                                      // 000000008B8C: BF0A4252
	s_cselect_b32 s21, s36, s60                                // 000000008B90: 85153C24
	s_mov_b64 exec, s[20:21]                                   // 000000008B94: BEFE0114
	global_atomic_add_f32 v6, v92, s[8:9]                      // 000000008B98: DD348000 00085C06
	global_atomic_add_f32 v6, v96, s[8:9] offset:256           // 000000008BA0: DD348100 00086006
	s_mov_b64 exec, s[36:37]                                   // 000000008BA8: BEFE0124
	v_mov_b32_e32 v6, v47                                      // 000000008BAC: 7E0C032F
	s_mov_b64 s[60:61], 0                                      // 000000008BB0: BEBC0180
	v_readlane_b32 s82, v3, 10                                 // 000000008BB4: D2890052 00011503
	s_and_b32 s82, s82, 0xffffff                               // 000000008BBC: 8652FF52 00FFFFFF
	s_cmp_lt_u32 s82, s66                                      // 000000008BC4: BF0A4252
	s_cselect_b32 s20, s36, s60                                // 000000008BC8: 85143C24
	v_readlane_b32 s82, v3, 11                                 // 000000008BCC: D2890052 00011703
	s_and_b32 s82, s82, 0xffffff                               // 000000008BD4: 8652FF52 00FFFFFF
	s_cmp_lt_u32 s82, s66                                      // 000000008BDC: BF0A4252
	s_cselect_b32 s21, s36, s60                                // 000000008BE0: 85153C24
	s_mov_b64 exec, s[20:21]                                   // 000000008BE4: BEFE0114
	global_atomic_add_f32 v6, v93, s[8:9]                      // 000000008BE8: DD348000 00085D06
	global_atomic_add_f32 v6, v97, s[8:9] offset:256           // 000000008BF0: DD348100 00086106
	s_mov_b64 exec, s[36:37]                                   // 000000008BF8: BEFE0124
	ds_write_b64 v20, v[78:79]                                 // 000000008BFC: D89A0000 00004E14
	ds_write_b64 v20, v[82:83] offset:4352                     // 000000008C04: D89A1100 00005214
	ds_write_b64 v20, v[86:87] offset:8704                     // 000000008C0C: D89A2200 00005614
	ds_write_b64 v20, v[90:91] offset:2176                     // 000000008C14: D89A0880 00005A14
	ds_write_b64 v20, v[94:95] offset:6528                     // 000000008C1C: D89A1980 00005E14
	ds_write_b64 v20, v[98:99] offset:10880                    // 000000008C24: D89A2A80 00006214
	s_waitcnt lgkmcnt(0)                                       // 000000008C2C: BF8CC07F
	s_barrier                                                  // 000000008C30: BF8A0000
	ds_read_b32 v78, v21                                       // 000000008C34: D86C0000 4E000015
	ds_read_b32 v79, v21 offset:64                             // 000000008C3C: D86C0040 4F000015
	ds_read_b32 v82, v21 offset:2176                           // 000000008C44: D86C0880 52000015
	ds_read_b32 v83, v21 offset:2240                           // 000000008C4C: D86C08C0 53000015
	ds_read_b32 v86, v21 offset:4352                           // 000000008C54: D86C1100 56000015
	ds_read_b32 v87, v21 offset:4416                           // 000000008C5C: D86C1140 57000015
	ds_read_b32 v90, v21 offset:6528                           // 000000008C64: D86C1980 5A000015
	ds_read_b32 v91, v21 offset:6592                           // 000000008C6C: D86C19C0 5B000015
	ds_read_b32 v94, v21 offset:8704                           // 000000008C74: D86C2200 5E000015
	ds_read_b32 v95, v21 offset:8768                           // 000000008C7C: D86C2240 5F000015
	ds_read_b32 v98, v21 offset:10880                          // 000000008C84: D86C2A80 62000015
	ds_read_b32 v99, v21 offset:10944                          // 000000008C8C: D86C2AC0 63000015
	s_waitcnt lgkmcnt(0)                                       // 000000008C94: BF8CC07F
	v_mov_b32_e32 v7, 0                                        // 000000008C98: 7E0E0280
	s_mov_b64 exec, s[36:37]                                   // 000000008C9C: BEFE0124
	v_mov_b32_e32 v6, v42                                      // 000000008CA0: 7E0C032A
	s_mov_b64 s[60:61], 0                                      // 000000008CA4: BEBC0180
	v_readlane_b32 s82, v3, 0                                  // 000000008CA8: D2890052 00010103
	s_and_b32 s82, s82, 0xffffff                               // 000000008CB0: 8652FF52 00FFFFFF
	s_cmp_lt_u32 s82, s66                                      // 000000008CB8: BF0A4252
	s_cselect_b32 s20, s36, s60                                // 000000008CBC: 85143C24
	v_readlane_b32 s82, v3, 1                                  // 000000008CC0: D2890052 00010303
	s_and_b32 s82, s82, 0xffffff                               // 000000008CC8: 8652FF52 00FFFFFF
	s_cmp_lt_u32 s82, s66                                      // 000000008CD0: BF0A4252
	s_cselect_b32 s21, s36, s60                                // 000000008CD4: 85153C24
	s_mov_b64 exec, s[20:21]                                   // 000000008CD8: BEFE0114
	global_atomic_add_f32 v6, v78, s[8:9] offset:8             // 000000008CDC: DD348008 00084E06
	global_atomic_add_f32 v6, v82, s[8:9] offset:264           // 000000008CE4: DD348108 00085206
	s_mov_b64 exec, s[36:37]                                   // 000000008CEC: BEFE0124
	v_mov_b32_e32 v6, v43                                      // 000000008CF0: 7E0C032B
	s_mov_b64 s[60:61], 0                                      // 000000008CF4: BEBC0180
	v_readlane_b32 s82, v3, 2                                  // 000000008CF8: D2890052 00010503
	s_and_b32 s82, s82, 0xffffff                               // 000000008D00: 8652FF52 00FFFFFF
	s_cmp_lt_u32 s82, s66                                      // 000000008D08: BF0A4252
	s_cselect_b32 s20, s36, s60                                // 000000008D0C: 85143C24
	v_readlane_b32 s82, v3, 3                                  // 000000008D10: D2890052 00010703
	s_and_b32 s82, s82, 0xffffff                               // 000000008D18: 8652FF52 00FFFFFF
	s_cmp_lt_u32 s82, s66                                      // 000000008D20: BF0A4252
	s_cselect_b32 s21, s36, s60                                // 000000008D24: 85153C24
	s_mov_b64 exec, s[20:21]                                   // 000000008D28: BEFE0114
	global_atomic_add_f32 v6, v79, s[8:9] offset:8             // 000000008D2C: DD348008 00084F06
	global_atomic_add_f32 v6, v83, s[8:9] offset:264           // 000000008D34: DD348108 00085306
	s_mov_b64 exec, s[36:37]                                   // 000000008D3C: BEFE0124
	v_mov_b32_e32 v6, v44                                      // 000000008D40: 7E0C032C
	s_mov_b64 s[60:61], 0                                      // 000000008D44: BEBC0180
	v_readlane_b32 s82, v3, 4                                  // 000000008D48: D2890052 00010903
	s_and_b32 s82, s82, 0xffffff                               // 000000008D50: 8652FF52 00FFFFFF
	s_cmp_lt_u32 s82, s66                                      // 000000008D58: BF0A4252
	s_cselect_b32 s20, s36, s60                                // 000000008D5C: 85143C24
	v_readlane_b32 s82, v3, 5                                  // 000000008D60: D2890052 00010B03
	s_and_b32 s82, s82, 0xffffff                               // 000000008D68: 8652FF52 00FFFFFF
	s_cmp_lt_u32 s82, s66                                      // 000000008D70: BF0A4252
	s_cselect_b32 s21, s36, s60                                // 000000008D74: 85153C24
	s_mov_b64 exec, s[20:21]                                   // 000000008D78: BEFE0114
	global_atomic_add_f32 v6, v86, s[8:9] offset:8             // 000000008D7C: DD348008 00085606
	global_atomic_add_f32 v6, v90, s[8:9] offset:264           // 000000008D84: DD348108 00085A06
	s_mov_b64 exec, s[36:37]                                   // 000000008D8C: BEFE0124
	v_mov_b32_e32 v6, v45                                      // 000000008D90: 7E0C032D
	s_mov_b64 s[60:61], 0                                      // 000000008D94: BEBC0180
	v_readlane_b32 s82, v3, 6                                  // 000000008D98: D2890052 00010D03
	s_and_b32 s82, s82, 0xffffff                               // 000000008DA0: 8652FF52 00FFFFFF
	s_cmp_lt_u32 s82, s66                                      // 000000008DA8: BF0A4252
	s_cselect_b32 s20, s36, s60                                // 000000008DAC: 85143C24
	v_readlane_b32 s82, v3, 7                                  // 000000008DB0: D2890052 00010F03
	s_and_b32 s82, s82, 0xffffff                               // 000000008DB8: 8652FF52 00FFFFFF
	s_cmp_lt_u32 s82, s66                                      // 000000008DC0: BF0A4252
	s_cselect_b32 s21, s36, s60                                // 000000008DC4: 85153C24
	s_mov_b64 exec, s[20:21]                                   // 000000008DC8: BEFE0114
	global_atomic_add_f32 v6, v87, s[8:9] offset:8             // 000000008DCC: DD348008 00085706
	global_atomic_add_f32 v6, v91, s[8:9] offset:264           // 000000008DD4: DD348108 00085B06
	s_mov_b64 exec, s[36:37]                                   // 000000008DDC: BEFE0124
	v_mov_b32_e32 v6, v46                                      // 000000008DE0: 7E0C032E
	s_mov_b64 s[60:61], 0                                      // 000000008DE4: BEBC0180
	v_readlane_b32 s82, v3, 8                                  // 000000008DE8: D2890052 00011103
	s_and_b32 s82, s82, 0xffffff                               // 000000008DF0: 8652FF52 00FFFFFF
	s_cmp_lt_u32 s82, s66                                      // 000000008DF8: BF0A4252
	s_cselect_b32 s20, s36, s60                                // 000000008DFC: 85143C24
	v_readlane_b32 s82, v3, 9                                  // 000000008E00: D2890052 00011303
	s_and_b32 s82, s82, 0xffffff                               // 000000008E08: 8652FF52 00FFFFFF
	s_cmp_lt_u32 s82, s66                                      // 000000008E10: BF0A4252
	s_cselect_b32 s21, s36, s60                                // 000000008E14: 85153C24
	s_mov_b64 exec, s[20:21]                                   // 000000008E18: BEFE0114
	global_atomic_add_f32 v6, v94, s[8:9] offset:8             // 000000008E1C: DD348008 00085E06
	global_atomic_add_f32 v6, v98, s[8:9] offset:264           // 000000008E24: DD348108 00086206
	s_mov_b64 exec, s[36:37]                                   // 000000008E2C: BEFE0124
	v_mov_b32_e32 v6, v47                                      // 000000008E30: 7E0C032F
	s_mov_b64 s[60:61], 0                                      // 000000008E34: BEBC0180
	v_readlane_b32 s82, v3, 10                                 // 000000008E38: D2890052 00011503
	s_and_b32 s82, s82, 0xffffff                               // 000000008E40: 8652FF52 00FFFFFF
	s_cmp_lt_u32 s82, s66                                      // 000000008E48: BF0A4252
	s_cselect_b32 s20, s36, s60                                // 000000008E4C: 85143C24
	v_readlane_b32 s82, v3, 11                                 // 000000008E50: D2890052 00011703
	s_and_b32 s82, s82, 0xffffff                               // 000000008E58: 8652FF52 00FFFFFF
	s_cmp_lt_u32 s82, s66                                      // 000000008E60: BF0A4252
	s_cselect_b32 s21, s36, s60                                // 000000008E64: 85153C24
	s_mov_b64 exec, s[20:21]                                   // 000000008E68: BEFE0114
	global_atomic_add_f32 v6, v95, s[8:9] offset:8             // 000000008E6C: DD348008 00085F06
	global_atomic_add_f32 v6, v99, s[8:9] offset:264           // 000000008E74: DD348108 00086306
	s_mov_b64 exec, s[36:37]                                   // 000000008E7C: BEFE0124
	s_branch label_1924                                        // 000000008E80: BF820000

0000000000008e84 <label_1924>:
	s_waitcnt vmcnt(0) expcnt(0) lgkmcnt(0)                    // 000000008E84: BF8C0000
	s_endpgm                                                   // 000000008E88: BF810000
